;; amdgpu-corpus repo=ggml-org/llama.cpp kind=compiled arch=gfx1201 opt=O3
	.amdgcn_target "amdgcn-amd-amdhsa--gfx1201"
	.amdhsa_code_object_version 6
	.section	.text._ZL13quantize_q8_1PKfPvlllllj15HIP_vector_typeIjLj3EE,"axG",@progbits,_ZL13quantize_q8_1PKfPvlllllj15HIP_vector_typeIjLj3EE,comdat
	.globl	_ZL13quantize_q8_1PKfPvlllllj15HIP_vector_typeIjLj3EE ; -- Begin function _ZL13quantize_q8_1PKfPvlllllj15HIP_vector_typeIjLj3EE
	.p2align	8
	.type	_ZL13quantize_q8_1PKfPvlllllj15HIP_vector_typeIjLj3EE,@function
_ZL13quantize_q8_1PKfPvlllllj15HIP_vector_typeIjLj3EE: ; @_ZL13quantize_q8_1PKfPvlllllj15HIP_vector_typeIjLj3EE
; %bb.0:
	s_clause 0x1
	s_load_b32 s2, s[0:1], 0x54
	s_load_b128 s[12:15], s[0:1], 0x30
	v_mov_b32_e32 v1, 0
	s_wait_kmcnt 0x0
	s_and_b32 s2, s2, 0xffff
	s_delay_alu instid0(VALU_DEP_1) | instid1(SALU_CYCLE_1)
	v_mad_co_u64_u32 v[2:3], null, s2, ttmp9, v[0:1]
	s_mov_b32 s2, exec_lo
	v_cmpx_gt_i64_e64 s[12:13], v[2:3]
	s_cbranch_execz .LBB0_7
; %bb.1:
	s_clause 0x1
	s_load_b256 s[4:11], s[0:1], 0x0
	s_load_b128 s[16:19], s[0:1], 0x20
	s_mov_b32 s3, 0
	s_lshr_b32 s2, ttmp7, 16
	s_wait_kmcnt 0x0
	v_cmp_gt_i64_e32 vcc_lo, s[8:9], v[2:3]
	s_and_b32 s8, ttmp7, 0xffff
	s_wait_alu 0xfffe
	s_mov_b32 s9, s3
	s_and_saveexec_b32 s14, vcc_lo
	s_cbranch_execz .LBB0_3
; %bb.2:
	s_load_b96 s[20:22], s[0:1], 0x3c
	s_mov_b32 s25, s3
	s_mov_b32 s23, s3
	;; [unrolled: 1-line block ×3, first 2 shown]
	s_mul_u64 s[10:11], s[10:11], s[8:9]
	v_lshlrev_b64_e32 v[0:1], 2, v[2:3]
	s_lshl_b64 s[10:11], s[10:11], 2
	s_wait_kmcnt 0x0
	s_mov_b32 s24, s20
	s_delay_alu instid0(SALU_CYCLE_1) | instskip(NEXT) | instid1(SALU_CYCLE_1)
	s_mul_u64 s[24:25], s[24:25], s[2:3]
	s_add_co_i32 s15, s2, s25
	s_delay_alu instid0(SALU_CYCLE_1) | instskip(NEXT) | instid1(SALU_CYCLE_1)
	s_lshr_b32 s26, s15, s21
	s_mul_u64 s[20:21], s[26:27], s[22:23]
	s_mul_u64 s[18:19], s[18:19], s[26:27]
	s_sub_nc_u64 s[20:21], s[2:3], s[20:21]
	s_lshl_b64 s[18:19], s[18:19], 2
	s_mul_u64 s[16:17], s[20:21], s[16:17]
	s_add_nc_u64 s[4:5], s[4:5], s[18:19]
	s_lshl_b64 s[16:17], s[16:17], 2
	s_delay_alu instid0(SALU_CYCLE_1) | instskip(NEXT) | instid1(SALU_CYCLE_1)
	s_add_nc_u64 s[4:5], s[4:5], s[16:17]
	s_add_nc_u64 s[4:5], s[4:5], s[10:11]
	s_delay_alu instid0(SALU_CYCLE_1) | instskip(NEXT) | instid1(VALU_DEP_1)
	v_add_co_u32 v0, vcc_lo, s4, v0
	v_add_co_ci_u32_e64 v1, null, s5, v1, vcc_lo
	global_load_b32 v1, v[0:1], off
.LBB0_3:
	s_or_b32 exec_lo, exec_lo, s14
	v_mbcnt_lo_u32_b32 v0, -1, 0
	s_wait_loadcnt 0x0
	v_max_num_f32_e64 v7, |v1|, |v1|
	v_and_b32_e32 v5, 0x7fffffff, v1
	s_delay_alu instid0(VALU_DEP_3)
	v_xor_b32_e32 v4, 16, v0
	v_xor_b32_e32 v6, 8, v0
	;; [unrolled: 1-line block ×5, first 2 shown]
	v_cmp_gt_i32_e32 vcc_lo, 32, v4
	s_wait_alu 0xfffd
	v_cndmask_b32_e32 v4, v0, v4, vcc_lo
	v_cmp_gt_i32_e32 vcc_lo, 32, v6
	s_delay_alu instid0(VALU_DEP_2)
	v_lshlrev_b32_e32 v4, 2, v4
	ds_bpermute_b32 v5, v4, v5
	s_wait_dscnt 0x0
	s_wait_alu 0xfffd
	v_dual_max_num_f32 v5, v5, v5 :: v_dual_cndmask_b32 v6, v0, v6
	v_cmp_gt_i32_e32 vcc_lo, 32, v8
	ds_bpermute_b32 v4, v4, v1
	v_dual_max_num_f32 v5, v7, v5 :: v_dual_lshlrev_b32 v6, 2, v6
	ds_bpermute_b32 v7, v6, v5
	s_wait_dscnt 0x0
	v_dual_add_f32 v4, v1, v4 :: v_dual_max_num_f32 v7, v7, v7
	s_wait_alu 0xfffd
	v_cndmask_b32_e32 v8, v0, v8, vcc_lo
	v_cmp_gt_i32_e32 vcc_lo, 32, v9
	ds_bpermute_b32 v6, v6, v4
	v_dual_max_num_f32 v5, v5, v7 :: v_dual_lshlrev_b32 v8, 2, v8
	s_wait_alu 0xfffd
	v_cndmask_b32_e32 v9, v0, v9, vcc_lo
	v_cmp_gt_i32_e32 vcc_lo, 32, v10
	ds_bpermute_b32 v7, v8, v5
	s_wait_alu 0xfffd
	v_dual_cndmask_b32 v0, v0, v10 :: v_dual_lshlrev_b32 v9, 2, v9
	s_delay_alu instid0(VALU_DEP_1)
	v_lshlrev_b32_e32 v0, 2, v0
	s_wait_dscnt 0x1
	v_add_f32_e32 v4, v4, v6
	ds_bpermute_b32 v6, v8, v4
	s_wait_dscnt 0x1
	v_max_num_f32_e32 v7, v7, v7
	s_delay_alu instid0(VALU_DEP_1) | instskip(SKIP_3) | instid1(VALU_DEP_1)
	v_max_num_f32_e32 v5, v5, v7
	ds_bpermute_b32 v7, v9, v5
	s_wait_dscnt 0x0
	v_dual_add_f32 v4, v4, v6 :: v_dual_max_num_f32 v7, v7, v7
	v_max_num_f32_e32 v5, v5, v7
	ds_bpermute_b32 v7, v0, v5
	s_wait_dscnt 0x0
	v_max_num_f32_e32 v7, v7, v7
	s_delay_alu instid0(VALU_DEP_1)
	v_max_num_f32_e32 v7, v5, v7
	ds_bpermute_b32 v5, v9, v4
	s_wait_dscnt 0x0
	v_dual_add_f32 v5, v4, v5 :: v_dual_mov_b32 v4, 0
	v_div_scale_f32 v8, null, 0x42fe0000, 0x42fe0000, v7
	v_div_scale_f32 v9, vcc_lo, v7, 0x42fe0000, v7
	s_delay_alu instid0(VALU_DEP_2) | instskip(NEXT) | instid1(TRANS32_DEP_1)
	v_rcp_f32_e32 v10, v8
	v_fma_f32 v6, -v8, v10, 1.0
	s_delay_alu instid0(VALU_DEP_1) | instskip(NEXT) | instid1(VALU_DEP_1)
	v_fmac_f32_e32 v10, v6, v10
	v_mul_f32_e32 v11, v9, v10
	s_delay_alu instid0(VALU_DEP_1) | instskip(NEXT) | instid1(VALU_DEP_1)
	v_fma_f32 v6, -v8, v11, v9
	v_fmac_f32_e32 v11, v6, v10
	ds_bpermute_b32 v6, v0, v5
	v_fma_f32 v0, -v8, v11, v9
	v_mov_b32_e32 v8, 0
	s_wait_alu 0xfffd
	s_delay_alu instid0(VALU_DEP_2) | instskip(SKIP_1) | instid1(VALU_DEP_2)
	v_div_fmas_f32 v0, v0, v10, v11
	v_cmp_neq_f32_e32 vcc_lo, 0, v7
	v_div_fixup_f32 v7, v0, 0x42fe0000, v7
	s_and_saveexec_b32 s4, vcc_lo
	s_cbranch_execz .LBB0_5
; %bb.4:
	s_delay_alu instid0(VALU_DEP_1) | instskip(SKIP_1) | instid1(VALU_DEP_2)
	v_div_scale_f32 v0, null, v7, v7, v1
	v_div_scale_f32 v10, vcc_lo, v1, v7, v1
	v_rcp_f32_e32 v8, v0
	s_delay_alu instid0(TRANS32_DEP_1) | instskip(NEXT) | instid1(VALU_DEP_1)
	v_fma_f32 v9, -v0, v8, 1.0
	v_fmac_f32_e32 v8, v9, v8
	s_delay_alu instid0(VALU_DEP_1) | instskip(NEXT) | instid1(VALU_DEP_1)
	v_mul_f32_e32 v9, v10, v8
	v_fma_f32 v11, -v0, v9, v10
	s_delay_alu instid0(VALU_DEP_1) | instskip(NEXT) | instid1(VALU_DEP_1)
	v_fmac_f32_e32 v9, v11, v8
	v_fma_f32 v0, -v0, v9, v10
	s_wait_alu 0xfffd
	s_delay_alu instid0(VALU_DEP_1) | instskip(NEXT) | instid1(VALU_DEP_1)
	v_div_fmas_f32 v0, v0, v8, v9
	v_div_fixup_f32 v0, v0, v7, v1
	s_delay_alu instid0(VALU_DEP_1) | instskip(NEXT) | instid1(VALU_DEP_1)
	v_trunc_f32_e32 v1, v0
	v_sub_f32_e32 v8, v0, v1
	s_delay_alu instid0(VALU_DEP_1) | instskip(SKIP_1) | instid1(VALU_DEP_1)
	v_cmp_ge_f32_e64 s5, |v8|, 0.5
	s_wait_alu 0xf1ff
	v_cndmask_b32_e64 v8, 0, 1.0, s5
	s_delay_alu instid0(VALU_DEP_1) | instskip(NEXT) | instid1(VALU_DEP_1)
	v_bfi_b32 v0, 0x7fffffff, v8, v0
	v_add_f32_e32 v0, v1, v0
	s_delay_alu instid0(VALU_DEP_1)
	v_cvt_i32_f32_e32 v8, v0
.LBB0_5:
	s_wait_alu 0xfffe
	s_or_b32 exec_lo, exec_lo, s4
	s_load_b32 s0, s[0:1], 0x38
	s_mov_b32 s1, 0
	s_wait_kmcnt 0x0
	s_wait_alu 0xfffe
	s_mul_u64 s[0:1], s[0:1], s[2:3]
	s_wait_alu 0xfffe
	s_add_nc_u64 s[0:1], s[0:1], s[8:9]
	s_wait_alu 0xfffe
	v_mad_co_u64_u32 v[2:3], null, s0, s12, v[2:3]
	s_mul_i32 s1, s1, s12
	s_mul_i32 s0, s0, s13
	s_wait_alu 0xfffe
	v_add3_u32 v3, s0, s1, v3
	s_delay_alu instid0(VALU_DEP_1) | instskip(SKIP_1) | instid1(VALU_DEP_2)
	v_alignbit_b32 v0, v3, v2, 5
	v_lshrrev_b32_e32 v3, 5, v3
	v_mad_co_u64_u32 v[0:1], null, v0, 36, s[6:7]
	s_delay_alu instid0(VALU_DEP_1) | instskip(SKIP_1) | instid1(VALU_DEP_1)
	v_mad_co_u64_u32 v[9:10], null, v3, 36, v[1:2]
	v_and_b32_e32 v3, 31, v2
	v_add_co_u32 v10, vcc_lo, v0, v3
	s_wait_alu 0xfffd
	s_delay_alu instid0(VALU_DEP_3)
	v_add_co_ci_u32_e64 v11, null, 0, v9, vcc_lo
	v_cmp_eq_u64_e32 vcc_lo, 0, v[3:4]
	v_mov_b32_e32 v1, v9
	global_store_b8 v[10:11], v8, off offset:4
	s_and_b32 exec_lo, exec_lo, vcc_lo
	s_cbranch_execz .LBB0_7
; %bb.6:
	v_cvt_f16_f32_e32 v3, v7
	s_wait_dscnt 0x0
	s_delay_alu instid0(VALU_DEP_1) | instskip(NEXT) | instid1(VALU_DEP_1)
	v_dual_add_f32 v2, v5, v6 :: v_dual_and_b32 v3, 0xffff, v3
	v_cvt_f16_f32_e32 v2, v2
	s_delay_alu instid0(VALU_DEP_1) | instskip(NEXT) | instid1(VALU_DEP_1)
	v_lshlrev_b32_e32 v2, 16, v2
	v_or_b32_e32 v2, v2, v3
	global_store_b32 v[0:1], v2, off
.LBB0_7:
	s_endpgm
	.section	.rodata,"a",@progbits
	.p2align	6, 0x0
	.amdhsa_kernel _ZL13quantize_q8_1PKfPvlllllj15HIP_vector_typeIjLj3EE
		.amdhsa_group_segment_fixed_size 0
		.amdhsa_private_segment_fixed_size 0
		.amdhsa_kernarg_size 328
		.amdhsa_user_sgpr_count 2
		.amdhsa_user_sgpr_dispatch_ptr 0
		.amdhsa_user_sgpr_queue_ptr 0
		.amdhsa_user_sgpr_kernarg_segment_ptr 1
		.amdhsa_user_sgpr_dispatch_id 0
		.amdhsa_user_sgpr_private_segment_size 0
		.amdhsa_wavefront_size32 1
		.amdhsa_uses_dynamic_stack 0
		.amdhsa_enable_private_segment 0
		.amdhsa_system_sgpr_workgroup_id_x 1
		.amdhsa_system_sgpr_workgroup_id_y 1
		.amdhsa_system_sgpr_workgroup_id_z 1
		.amdhsa_system_sgpr_workgroup_info 0
		.amdhsa_system_vgpr_workitem_id 0
		.amdhsa_next_free_vgpr 12
		.amdhsa_next_free_sgpr 28
		.amdhsa_reserve_vcc 1
		.amdhsa_float_round_mode_32 0
		.amdhsa_float_round_mode_16_64 0
		.amdhsa_float_denorm_mode_32 3
		.amdhsa_float_denorm_mode_16_64 3
		.amdhsa_fp16_overflow 0
		.amdhsa_workgroup_processor_mode 1
		.amdhsa_memory_ordered 1
		.amdhsa_forward_progress 1
		.amdhsa_inst_pref_size 9
		.amdhsa_round_robin_scheduling 0
		.amdhsa_exception_fp_ieee_invalid_op 0
		.amdhsa_exception_fp_denorm_src 0
		.amdhsa_exception_fp_ieee_div_zero 0
		.amdhsa_exception_fp_ieee_overflow 0
		.amdhsa_exception_fp_ieee_underflow 0
		.amdhsa_exception_fp_ieee_inexact 0
		.amdhsa_exception_int_div_zero 0
	.end_amdhsa_kernel
	.section	.text._ZL13quantize_q8_1PKfPvlllllj15HIP_vector_typeIjLj3EE,"axG",@progbits,_ZL13quantize_q8_1PKfPvlllllj15HIP_vector_typeIjLj3EE,comdat
.Lfunc_end0:
	.size	_ZL13quantize_q8_1PKfPvlllllj15HIP_vector_typeIjLj3EE, .Lfunc_end0-_ZL13quantize_q8_1PKfPvlllllj15HIP_vector_typeIjLj3EE
                                        ; -- End function
	.set _ZL13quantize_q8_1PKfPvlllllj15HIP_vector_typeIjLj3EE.num_vgpr, 12
	.set _ZL13quantize_q8_1PKfPvlllllj15HIP_vector_typeIjLj3EE.num_agpr, 0
	.set _ZL13quantize_q8_1PKfPvlllllj15HIP_vector_typeIjLj3EE.numbered_sgpr, 28
	.set _ZL13quantize_q8_1PKfPvlllllj15HIP_vector_typeIjLj3EE.num_named_barrier, 0
	.set _ZL13quantize_q8_1PKfPvlllllj15HIP_vector_typeIjLj3EE.private_seg_size, 0
	.set _ZL13quantize_q8_1PKfPvlllllj15HIP_vector_typeIjLj3EE.uses_vcc, 1
	.set _ZL13quantize_q8_1PKfPvlllllj15HIP_vector_typeIjLj3EE.uses_flat_scratch, 0
	.set _ZL13quantize_q8_1PKfPvlllllj15HIP_vector_typeIjLj3EE.has_dyn_sized_stack, 0
	.set _ZL13quantize_q8_1PKfPvlllllj15HIP_vector_typeIjLj3EE.has_recursion, 0
	.set _ZL13quantize_q8_1PKfPvlllllj15HIP_vector_typeIjLj3EE.has_indirect_call, 0
	.section	.AMDGPU.csdata,"",@progbits
; Kernel info:
; codeLenInByte = 1076
; TotalNumSgprs: 30
; NumVgprs: 12
; ScratchSize: 0
; MemoryBound: 0
; FloatMode: 240
; IeeeMode: 1
; LDSByteSize: 0 bytes/workgroup (compile time only)
; SGPRBlocks: 0
; VGPRBlocks: 1
; NumSGPRsForWavesPerEU: 30
; NumVGPRsForWavesPerEU: 12
; Occupancy: 16
; WaveLimiterHint : 0
; COMPUTE_PGM_RSRC2:SCRATCH_EN: 0
; COMPUTE_PGM_RSRC2:USER_SGPR: 2
; COMPUTE_PGM_RSRC2:TRAP_HANDLER: 0
; COMPUTE_PGM_RSRC2:TGID_X_EN: 1
; COMPUTE_PGM_RSRC2:TGID_Y_EN: 1
; COMPUTE_PGM_RSRC2:TGID_Z_EN: 1
; COMPUTE_PGM_RSRC2:TIDIG_COMP_CNT: 0
	.text
	.p2align	2                               ; -- Begin function __ockl_printf_append_string_n
	.type	__ockl_printf_append_string_n,@function
__ockl_printf_append_string_n:          ; @__ockl_printf_append_string_n
; %bb.0:
	s_wait_loadcnt_dscnt 0x0
	s_wait_expcnt 0x0
	s_wait_samplecnt 0x0
	s_wait_bvhcnt 0x0
	s_wait_kmcnt 0x0
	v_mov_b32_e32 v3, v0
	v_mbcnt_lo_u32_b32 v38, -1, 0
	s_getpc_b64 s[0:1]
	s_wait_alu 0xfffe
	s_sext_i32_i16 s1, s1
	s_add_co_u32 s0, s0, __FUNCTION__._ZL18quantize_mmq_nvfp4PKfPKiPvlllllll@rel32@lo+12
	s_wait_alu 0xfffe
	s_add_co_ci_u32 s1, s1, __FUNCTION__._ZL18quantize_mmq_nvfp4PKfPKiPvlllllll@rel32@hi+24
	s_wait_alu 0xfffe
	s_cmp_lg_u64 s[0:1], 0
	s_cbranch_scc0 .LBB1_87
; %bb.1:
	s_load_b64 s[2:3], s[8:9], 0x50
	s_getpc_b64 s[0:1]
	s_wait_alu 0xfffe
	s_sext_i32_i16 s1, s1
	s_add_co_u32 s0, s0, __FUNCTION__._ZL18quantize_mmq_nvfp4PKfPKiPvlllllll@rel32@lo+12
	s_wait_alu 0xfffe
	s_add_co_ci_u32 s1, s1, __FUNCTION__._ZL18quantize_mmq_nvfp4PKfPKiPvlllllll@rel32@hi+24
	s_wait_alu 0xfffe
	v_dual_mov_b32 v31, s1 :: v_dual_and_b32 v0, -3, v3
	v_dual_mov_b32 v12, 2 :: v_dual_mov_b32 v7, v1
	v_dual_mov_b32 v11, 0 :: v_dual_and_b32 v2, 2, v3
	v_dual_mov_b32 v30, s0 :: v_dual_mov_b32 v13, 1
	s_delay_alu instid0(VALU_DEP_4)
	v_mov_b32_e32 v6, v0
	s_mov_b32 s7, 0
	s_mov_b32 s6, 0
	s_branch .LBB1_3
.LBB1_2:                                ;   in Loop: Header=BB1_3 Depth=1
	s_wait_alu 0xfffe
	s_or_b32 exec_lo, exec_lo, s10
	v_sub_co_u32 v4, vcc_lo, v4, v32
	s_wait_alu 0xfffd
	v_sub_co_ci_u32_e64 v5, null, v5, v33, vcc_lo
	v_add_co_u32 v30, s0, v30, v32
	s_wait_alu 0xf1ff
	v_add_co_ci_u32_e64 v31, null, v31, v33, s0
	s_delay_alu instid0(VALU_DEP_3)
	v_cmp_eq_u64_e32 vcc_lo, 0, v[4:5]
	s_or_b32 s6, vcc_lo, s6
	s_wait_alu 0xfffe
	s_and_not1_b32 exec_lo, exec_lo, s6
	s_cbranch_execz .LBB1_85
.LBB1_3:                                ; =>This Loop Header: Depth=1
                                        ;     Child Loop BB1_6 Depth 2
                                        ;     Child Loop BB1_14 Depth 2
	;; [unrolled: 1-line block ×11, first 2 shown]
	v_cmp_gt_u64_e32 vcc_lo, 56, v[4:5]
	s_mov_b32 s1, exec_lo
	s_wait_alu 0xfffd
	v_dual_cndmask_b32 v33, 0, v5 :: v_dual_cndmask_b32 v32, 56, v4
	v_add_co_u32 v16, vcc_lo, v30, 8
	s_wait_alu 0xfffd
	v_add_co_ci_u32_e64 v17, null, 0, v31, vcc_lo
	v_cmpx_gt_u64_e32 8, v[4:5]
	s_wait_alu 0xfffe
	s_xor_b32 s1, exec_lo, s1
	s_cbranch_execz .LBB1_9
; %bb.4:                                ;   in Loop: Header=BB1_3 Depth=1
	v_mov_b32_e32 v8, 0
	v_mov_b32_e32 v9, 0
	s_mov_b32 s10, exec_lo
	v_cmpx_ne_u64_e32 0, v[4:5]
	s_cbranch_execz .LBB1_8
; %bb.5:                                ;   in Loop: Header=BB1_3 Depth=1
	v_lshlrev_b64_e32 v[14:15], 3, v[32:33]
	v_dual_mov_b32 v8, 0 :: v_dual_mov_b32 v15, v30
	v_dual_mov_b32 v9, 0 :: v_dual_mov_b32 v16, v31
	s_mov_b64 s[4:5], 0
	s_mov_b32 s11, 0
.LBB1_6:                                ;   Parent Loop BB1_3 Depth=1
                                        ; =>  This Inner Loop Header: Depth=2
	global_load_u8 v0, v[15:16], off
	v_mov_b32_e32 v18, s7
	v_add_co_u32 v15, vcc_lo, v15, 1
	s_wait_alu 0xfffd
	v_add_co_ci_u32_e64 v16, null, 0, v16, vcc_lo
	s_wait_loadcnt 0x0
	v_and_b32_e32 v17, 0xffff, v0
	s_wait_alu 0xfffe
	s_delay_alu instid0(VALU_DEP_1) | instskip(SKIP_3) | instid1(VALU_DEP_2)
	v_lshlrev_b64_e32 v[17:18], s4, v[17:18]
	s_add_nc_u64 s[4:5], s[4:5], 8
	s_wait_alu 0xfffe
	v_cmp_eq_u32_e64 s0, s4, v14
	v_or_b32_e32 v9, v18, v9
	s_delay_alu instid0(VALU_DEP_3)
	v_or_b32_e32 v8, v17, v8
	s_or_b32 s11, s0, s11
	s_wait_alu 0xfffe
	s_and_not1_b32 exec_lo, exec_lo, s11
	s_cbranch_execnz .LBB1_6
; %bb.7:                                ;   in Loop: Header=BB1_3 Depth=1
	s_or_b32 exec_lo, exec_lo, s11
.LBB1_8:                                ;   in Loop: Header=BB1_3 Depth=1
	s_wait_alu 0xfffe
	s_or_b32 exec_lo, exec_lo, s10
	v_dual_mov_b32 v16, v30 :: v_dual_mov_b32 v17, v31
.LBB1_9:                                ;   in Loop: Header=BB1_3 Depth=1
	s_wait_alu 0xfffe
	s_or_saveexec_b32 s0, s1
	v_mov_b32_e32 v0, 0
	s_wait_alu 0xfffe
	s_xor_b32 exec_lo, exec_lo, s0
	s_cbranch_execz .LBB1_11
; %bb.10:                               ;   in Loop: Header=BB1_3 Depth=1
	global_load_b64 v[8:9], v[30:31], off
	v_add_nc_u32_e32 v0, -8, v32
.LBB1_11:                               ;   in Loop: Header=BB1_3 Depth=1
	s_or_b32 exec_lo, exec_lo, s0
	v_add_co_u32 v18, s0, v16, 8
	s_wait_alu 0xf1ff
	v_add_co_ci_u32_e64 v19, null, 0, v17, s0
                                        ; implicit-def: $vgpr14_vgpr15
	s_mov_b32 s0, exec_lo
	v_cmpx_gt_u32_e32 8, v0
	s_wait_alu 0xfffe
	s_xor_b32 s10, exec_lo, s0
	s_cbranch_execz .LBB1_17
; %bb.12:                               ;   in Loop: Header=BB1_3 Depth=1
	v_mov_b32_e32 v14, 0
	v_mov_b32_e32 v15, 0
	s_mov_b32 s11, exec_lo
	v_cmpx_ne_u32_e32 0, v0
	s_cbranch_execz .LBB1_16
; %bb.13:                               ;   in Loop: Header=BB1_3 Depth=1
	v_mov_b32_e32 v14, 0
	v_mov_b32_e32 v15, 0
	s_mov_b64 s[0:1], 0
	s_mov_b32 s12, 0
	s_mov_b64 s[4:5], 0
.LBB1_14:                               ;   Parent Loop BB1_3 Depth=1
                                        ; =>  This Inner Loop Header: Depth=2
	s_wait_alu 0xfffe
	v_add_co_u32 v18, vcc_lo, v16, s4
	s_wait_alu 0xfffd
	v_add_co_ci_u32_e64 v19, null, s5, v17, vcc_lo
	s_add_nc_u64 s[4:5], s[4:5], 1
	s_wait_alu 0xfffe
	v_cmp_eq_u32_e32 vcc_lo, s4, v0
	global_load_u8 v10, v[18:19], off
	v_mov_b32_e32 v19, s7
	s_or_b32 s12, vcc_lo, s12
	s_wait_loadcnt 0x0
	v_and_b32_e32 v18, 0xffff, v10
	s_delay_alu instid0(VALU_DEP_1) | instskip(SKIP_1) | instid1(VALU_DEP_1)
	v_lshlrev_b64_e32 v[18:19], s0, v[18:19]
	s_add_nc_u64 s[0:1], s[0:1], 8
	v_or_b32_e32 v15, v19, v15
	s_delay_alu instid0(VALU_DEP_2)
	v_or_b32_e32 v14, v18, v14
	s_wait_alu 0xfffe
	s_and_not1_b32 exec_lo, exec_lo, s12
	s_cbranch_execnz .LBB1_14
; %bb.15:                               ;   in Loop: Header=BB1_3 Depth=1
	s_or_b32 exec_lo, exec_lo, s12
.LBB1_16:                               ;   in Loop: Header=BB1_3 Depth=1
	s_wait_alu 0xfffe
	s_or_b32 exec_lo, exec_lo, s11
	v_dual_mov_b32 v19, v17 :: v_dual_mov_b32 v18, v16
                                        ; implicit-def: $vgpr0
.LBB1_17:                               ;   in Loop: Header=BB1_3 Depth=1
	s_wait_alu 0xfffe
	s_or_saveexec_b32 s0, s10
	v_mov_b32_e32 v10, 0
	s_wait_alu 0xfffe
	s_xor_b32 exec_lo, exec_lo, s0
	s_cbranch_execz .LBB1_19
; %bb.18:                               ;   in Loop: Header=BB1_3 Depth=1
	global_load_b64 v[14:15], v[16:17], off
	v_add_nc_u32_e32 v10, -8, v0
.LBB1_19:                               ;   in Loop: Header=BB1_3 Depth=1
	s_or_b32 exec_lo, exec_lo, s0
	v_add_co_u32 v20, s0, v18, 8
	s_wait_alu 0xf1ff
	v_add_co_ci_u32_e64 v21, null, 0, v19, s0
	s_mov_b32 s0, exec_lo
	v_cmpx_gt_u32_e32 8, v10
	s_wait_alu 0xfffe
	s_xor_b32 s10, exec_lo, s0
	s_cbranch_execz .LBB1_25
; %bb.20:                               ;   in Loop: Header=BB1_3 Depth=1
	v_mov_b32_e32 v16, 0
	v_mov_b32_e32 v17, 0
	s_mov_b32 s11, exec_lo
	v_cmpx_ne_u32_e32 0, v10
	s_cbranch_execz .LBB1_24
; %bb.21:                               ;   in Loop: Header=BB1_3 Depth=1
	v_mov_b32_e32 v16, 0
	v_mov_b32_e32 v17, 0
	s_mov_b64 s[0:1], 0
	s_mov_b32 s12, 0
	s_mov_b64 s[4:5], 0
.LBB1_22:                               ;   Parent Loop BB1_3 Depth=1
                                        ; =>  This Inner Loop Header: Depth=2
	s_wait_alu 0xfffe
	v_add_co_u32 v20, vcc_lo, v18, s4
	s_wait_alu 0xfffd
	v_add_co_ci_u32_e64 v21, null, s5, v19, vcc_lo
	s_add_nc_u64 s[4:5], s[4:5], 1
	s_wait_alu 0xfffe
	v_cmp_eq_u32_e32 vcc_lo, s4, v10
	global_load_u8 v0, v[20:21], off
	v_mov_b32_e32 v21, s7
	s_or_b32 s12, vcc_lo, s12
	s_wait_loadcnt 0x0
	v_and_b32_e32 v20, 0xffff, v0
	s_delay_alu instid0(VALU_DEP_1) | instskip(SKIP_1) | instid1(VALU_DEP_1)
	v_lshlrev_b64_e32 v[20:21], s0, v[20:21]
	s_add_nc_u64 s[0:1], s[0:1], 8
	v_or_b32_e32 v17, v21, v17
	s_delay_alu instid0(VALU_DEP_2)
	v_or_b32_e32 v16, v20, v16
	s_wait_alu 0xfffe
	s_and_not1_b32 exec_lo, exec_lo, s12
	s_cbranch_execnz .LBB1_22
; %bb.23:                               ;   in Loop: Header=BB1_3 Depth=1
	s_or_b32 exec_lo, exec_lo, s12
.LBB1_24:                               ;   in Loop: Header=BB1_3 Depth=1
	s_wait_alu 0xfffe
	s_or_b32 exec_lo, exec_lo, s11
	v_dual_mov_b32 v21, v19 :: v_dual_mov_b32 v20, v18
                                        ; implicit-def: $vgpr10
.LBB1_25:                               ;   in Loop: Header=BB1_3 Depth=1
	s_wait_alu 0xfffe
	s_or_saveexec_b32 s0, s10
	v_mov_b32_e32 v0, 0
	s_wait_alu 0xfffe
	s_xor_b32 exec_lo, exec_lo, s0
	s_cbranch_execz .LBB1_27
; %bb.26:                               ;   in Loop: Header=BB1_3 Depth=1
	global_load_b64 v[16:17], v[18:19], off
	v_add_nc_u32_e32 v0, -8, v10
.LBB1_27:                               ;   in Loop: Header=BB1_3 Depth=1
	s_or_b32 exec_lo, exec_lo, s0
	v_add_co_u32 v22, s0, v20, 8
	s_wait_alu 0xf1ff
	v_add_co_ci_u32_e64 v23, null, 0, v21, s0
                                        ; implicit-def: $vgpr18_vgpr19
	s_mov_b32 s0, exec_lo
	v_cmpx_gt_u32_e32 8, v0
	s_wait_alu 0xfffe
	s_xor_b32 s10, exec_lo, s0
	s_cbranch_execz .LBB1_33
; %bb.28:                               ;   in Loop: Header=BB1_3 Depth=1
	v_mov_b32_e32 v18, 0
	v_mov_b32_e32 v19, 0
	s_mov_b32 s11, exec_lo
	v_cmpx_ne_u32_e32 0, v0
	s_cbranch_execz .LBB1_32
; %bb.29:                               ;   in Loop: Header=BB1_3 Depth=1
	v_mov_b32_e32 v18, 0
	v_mov_b32_e32 v19, 0
	s_mov_b64 s[0:1], 0
	s_mov_b32 s12, 0
	s_mov_b64 s[4:5], 0
.LBB1_30:                               ;   Parent Loop BB1_3 Depth=1
                                        ; =>  This Inner Loop Header: Depth=2
	s_wait_alu 0xfffe
	v_add_co_u32 v22, vcc_lo, v20, s4
	s_wait_alu 0xfffd
	v_add_co_ci_u32_e64 v23, null, s5, v21, vcc_lo
	s_add_nc_u64 s[4:5], s[4:5], 1
	s_wait_alu 0xfffe
	v_cmp_eq_u32_e32 vcc_lo, s4, v0
	global_load_u8 v10, v[22:23], off
	v_mov_b32_e32 v23, s7
	s_or_b32 s12, vcc_lo, s12
	s_wait_loadcnt 0x0
	v_and_b32_e32 v22, 0xffff, v10
	s_delay_alu instid0(VALU_DEP_1) | instskip(SKIP_1) | instid1(VALU_DEP_1)
	v_lshlrev_b64_e32 v[22:23], s0, v[22:23]
	s_add_nc_u64 s[0:1], s[0:1], 8
	v_or_b32_e32 v19, v23, v19
	s_delay_alu instid0(VALU_DEP_2)
	v_or_b32_e32 v18, v22, v18
	s_wait_alu 0xfffe
	s_and_not1_b32 exec_lo, exec_lo, s12
	s_cbranch_execnz .LBB1_30
; %bb.31:                               ;   in Loop: Header=BB1_3 Depth=1
	s_or_b32 exec_lo, exec_lo, s12
.LBB1_32:                               ;   in Loop: Header=BB1_3 Depth=1
	s_wait_alu 0xfffe
	s_or_b32 exec_lo, exec_lo, s11
	v_dual_mov_b32 v23, v21 :: v_dual_mov_b32 v22, v20
                                        ; implicit-def: $vgpr0
.LBB1_33:                               ;   in Loop: Header=BB1_3 Depth=1
	s_wait_alu 0xfffe
	s_or_saveexec_b32 s0, s10
	v_mov_b32_e32 v10, 0
	s_wait_alu 0xfffe
	s_xor_b32 exec_lo, exec_lo, s0
	s_cbranch_execz .LBB1_35
; %bb.34:                               ;   in Loop: Header=BB1_3 Depth=1
	global_load_b64 v[18:19], v[20:21], off
	v_add_nc_u32_e32 v10, -8, v0
.LBB1_35:                               ;   in Loop: Header=BB1_3 Depth=1
	s_or_b32 exec_lo, exec_lo, s0
	v_add_co_u32 v24, s0, v22, 8
	s_wait_alu 0xf1ff
	v_add_co_ci_u32_e64 v25, null, 0, v23, s0
	s_mov_b32 s0, exec_lo
	v_cmpx_gt_u32_e32 8, v10
	s_wait_alu 0xfffe
	s_xor_b32 s10, exec_lo, s0
	s_cbranch_execz .LBB1_41
; %bb.36:                               ;   in Loop: Header=BB1_3 Depth=1
	v_mov_b32_e32 v20, 0
	v_mov_b32_e32 v21, 0
	s_mov_b32 s11, exec_lo
	v_cmpx_ne_u32_e32 0, v10
	s_cbranch_execz .LBB1_40
; %bb.37:                               ;   in Loop: Header=BB1_3 Depth=1
	v_mov_b32_e32 v20, 0
	v_mov_b32_e32 v21, 0
	s_mov_b64 s[0:1], 0
	s_mov_b32 s12, 0
	s_mov_b64 s[4:5], 0
.LBB1_38:                               ;   Parent Loop BB1_3 Depth=1
                                        ; =>  This Inner Loop Header: Depth=2
	s_wait_alu 0xfffe
	v_add_co_u32 v24, vcc_lo, v22, s4
	s_wait_alu 0xfffd
	v_add_co_ci_u32_e64 v25, null, s5, v23, vcc_lo
	s_add_nc_u64 s[4:5], s[4:5], 1
	s_wait_alu 0xfffe
	v_cmp_eq_u32_e32 vcc_lo, s4, v10
	global_load_u8 v0, v[24:25], off
	v_mov_b32_e32 v25, s7
	s_or_b32 s12, vcc_lo, s12
	s_wait_loadcnt 0x0
	v_and_b32_e32 v24, 0xffff, v0
	s_delay_alu instid0(VALU_DEP_1) | instskip(SKIP_1) | instid1(VALU_DEP_1)
	v_lshlrev_b64_e32 v[24:25], s0, v[24:25]
	s_add_nc_u64 s[0:1], s[0:1], 8
	v_or_b32_e32 v21, v25, v21
	s_delay_alu instid0(VALU_DEP_2)
	v_or_b32_e32 v20, v24, v20
	s_wait_alu 0xfffe
	s_and_not1_b32 exec_lo, exec_lo, s12
	s_cbranch_execnz .LBB1_38
; %bb.39:                               ;   in Loop: Header=BB1_3 Depth=1
	s_or_b32 exec_lo, exec_lo, s12
.LBB1_40:                               ;   in Loop: Header=BB1_3 Depth=1
	s_wait_alu 0xfffe
	s_or_b32 exec_lo, exec_lo, s11
	v_dual_mov_b32 v25, v23 :: v_dual_mov_b32 v24, v22
                                        ; implicit-def: $vgpr10
.LBB1_41:                               ;   in Loop: Header=BB1_3 Depth=1
	s_wait_alu 0xfffe
	s_or_saveexec_b32 s0, s10
	v_mov_b32_e32 v0, 0
	s_wait_alu 0xfffe
	s_xor_b32 exec_lo, exec_lo, s0
	s_cbranch_execz .LBB1_43
; %bb.42:                               ;   in Loop: Header=BB1_3 Depth=1
	global_load_b64 v[20:21], v[22:23], off
	v_add_nc_u32_e32 v0, -8, v10
.LBB1_43:                               ;   in Loop: Header=BB1_3 Depth=1
	s_or_b32 exec_lo, exec_lo, s0
	v_add_co_u32 v26, s0, v24, 8
	s_wait_alu 0xf1ff
	v_add_co_ci_u32_e64 v27, null, 0, v25, s0
                                        ; implicit-def: $vgpr22_vgpr23
	s_mov_b32 s0, exec_lo
	v_cmpx_gt_u32_e32 8, v0
	s_wait_alu 0xfffe
	s_xor_b32 s10, exec_lo, s0
	s_cbranch_execz .LBB1_49
; %bb.44:                               ;   in Loop: Header=BB1_3 Depth=1
	v_mov_b32_e32 v22, 0
	v_mov_b32_e32 v23, 0
	s_mov_b32 s11, exec_lo
	v_cmpx_ne_u32_e32 0, v0
	s_cbranch_execz .LBB1_48
; %bb.45:                               ;   in Loop: Header=BB1_3 Depth=1
	v_mov_b32_e32 v22, 0
	v_mov_b32_e32 v23, 0
	s_mov_b64 s[0:1], 0
	s_mov_b32 s12, 0
	s_mov_b64 s[4:5], 0
.LBB1_46:                               ;   Parent Loop BB1_3 Depth=1
                                        ; =>  This Inner Loop Header: Depth=2
	s_wait_alu 0xfffe
	v_add_co_u32 v26, vcc_lo, v24, s4
	s_wait_alu 0xfffd
	v_add_co_ci_u32_e64 v27, null, s5, v25, vcc_lo
	s_add_nc_u64 s[4:5], s[4:5], 1
	s_wait_alu 0xfffe
	v_cmp_eq_u32_e32 vcc_lo, s4, v0
	global_load_u8 v10, v[26:27], off
	v_mov_b32_e32 v27, s7
	s_or_b32 s12, vcc_lo, s12
	s_wait_loadcnt 0x0
	v_and_b32_e32 v26, 0xffff, v10
	s_delay_alu instid0(VALU_DEP_1) | instskip(SKIP_1) | instid1(VALU_DEP_1)
	v_lshlrev_b64_e32 v[26:27], s0, v[26:27]
	s_add_nc_u64 s[0:1], s[0:1], 8
	v_or_b32_e32 v23, v27, v23
	s_delay_alu instid0(VALU_DEP_2)
	v_or_b32_e32 v22, v26, v22
	s_wait_alu 0xfffe
	s_and_not1_b32 exec_lo, exec_lo, s12
	s_cbranch_execnz .LBB1_46
; %bb.47:                               ;   in Loop: Header=BB1_3 Depth=1
	s_or_b32 exec_lo, exec_lo, s12
.LBB1_48:                               ;   in Loop: Header=BB1_3 Depth=1
	s_wait_alu 0xfffe
	s_or_b32 exec_lo, exec_lo, s11
	v_dual_mov_b32 v27, v25 :: v_dual_mov_b32 v26, v24
                                        ; implicit-def: $vgpr0
.LBB1_49:                               ;   in Loop: Header=BB1_3 Depth=1
	s_wait_alu 0xfffe
	s_or_saveexec_b32 s0, s10
	v_mov_b32_e32 v10, 0
	s_wait_alu 0xfffe
	s_xor_b32 exec_lo, exec_lo, s0
	s_cbranch_execz .LBB1_51
; %bb.50:                               ;   in Loop: Header=BB1_3 Depth=1
	global_load_b64 v[22:23], v[24:25], off
	v_add_nc_u32_e32 v10, -8, v0
.LBB1_51:                               ;   in Loop: Header=BB1_3 Depth=1
	s_or_b32 exec_lo, exec_lo, s0
	s_delay_alu instid0(SALU_CYCLE_1) | instskip(NEXT) | instid1(VALU_DEP_1)
	s_mov_b32 s0, exec_lo
	v_cmpx_gt_u32_e32 8, v10
	s_wait_alu 0xfffe
	s_xor_b32 s1, exec_lo, s0
	s_cbranch_execz .LBB1_57
; %bb.52:                               ;   in Loop: Header=BB1_3 Depth=1
	v_mov_b32_e32 v24, 0
	v_mov_b32_e32 v25, 0
	s_mov_b32 s10, exec_lo
	v_cmpx_ne_u32_e32 0, v10
	s_cbranch_execz .LBB1_56
; %bb.53:                               ;   in Loop: Header=BB1_3 Depth=1
	v_mov_b32_e32 v24, 0
	v_mov_b32_e32 v25, 0
	s_mov_b64 s[4:5], 0
	s_mov_b32 s11, 0
.LBB1_54:                               ;   Parent Loop BB1_3 Depth=1
                                        ; =>  This Inner Loop Header: Depth=2
	global_load_u8 v0, v[26:27], off
	v_dual_mov_b32 v29, s7 :: v_dual_add_nc_u32 v10, -1, v10
	v_add_co_u32 v26, vcc_lo, v26, 1
	s_wait_alu 0xfffd
	v_add_co_ci_u32_e64 v27, null, 0, v27, vcc_lo
	s_delay_alu instid0(VALU_DEP_3) | instskip(SKIP_4) | instid1(VALU_DEP_1)
	v_cmp_eq_u32_e64 s0, 0, v10
	s_wait_alu 0xfffe
	s_or_b32 s11, s0, s11
	s_wait_loadcnt 0x0
	v_and_b32_e32 v28, 0xffff, v0
	v_lshlrev_b64_e32 v[28:29], s4, v[28:29]
	s_add_nc_u64 s[4:5], s[4:5], 8
	s_delay_alu instid0(VALU_DEP_1) | instskip(NEXT) | instid1(VALU_DEP_2)
	v_or_b32_e32 v25, v29, v25
	v_or_b32_e32 v24, v28, v24
	s_wait_alu 0xfffe
	s_and_not1_b32 exec_lo, exec_lo, s11
	s_cbranch_execnz .LBB1_54
; %bb.55:                               ;   in Loop: Header=BB1_3 Depth=1
	s_or_b32 exec_lo, exec_lo, s11
.LBB1_56:                               ;   in Loop: Header=BB1_3 Depth=1
	s_wait_alu 0xfffe
	s_or_b32 exec_lo, exec_lo, s10
                                        ; implicit-def: $vgpr26_vgpr27
.LBB1_57:                               ;   in Loop: Header=BB1_3 Depth=1
	s_wait_alu 0xfffe
	s_and_not1_saveexec_b32 s0, s1
	s_cbranch_execz .LBB1_59
; %bb.58:                               ;   in Loop: Header=BB1_3 Depth=1
	global_load_b64 v[24:25], v[26:27], off
.LBB1_59:                               ;   in Loop: Header=BB1_3 Depth=1
	s_wait_alu 0xfffe
	s_or_b32 exec_lo, exec_lo, s0
	v_readfirstlane_b32 s0, v38
	v_mov_b32_e32 v34, 0
	v_mov_b32_e32 v35, 0
	s_wait_alu 0xf1ff
	s_delay_alu instid0(VALU_DEP_3)
	v_cmp_eq_u32_e64 s0, s0, v38
	s_and_saveexec_b32 s1, s0
	s_cbranch_execz .LBB1_65
; %bb.60:                               ;   in Loop: Header=BB1_3 Depth=1
	s_wait_kmcnt 0x0
	global_load_b64 v[28:29], v11, s[2:3] offset:24 scope:SCOPE_SYS
	s_wait_loadcnt 0x0
	global_inv scope:SCOPE_SYS
	s_clause 0x1
	global_load_b64 v[26:27], v11, s[2:3] offset:40
	global_load_b64 v[34:35], v11, s[2:3]
	s_mov_b32 s4, exec_lo
	s_wait_loadcnt 0x1
	v_and_b32_e32 v0, v27, v29
	v_and_b32_e32 v10, v26, v28
	s_delay_alu instid0(VALU_DEP_2) | instskip(NEXT) | instid1(VALU_DEP_2)
	v_mul_lo_u32 v0, 24, v0
	v_mul_lo_u32 v26, 0, v10
	v_mul_hi_u32 v27, 24, v10
	v_mul_lo_u32 v10, 24, v10
	s_delay_alu instid0(VALU_DEP_3) | instskip(SKIP_1) | instid1(VALU_DEP_2)
	v_add_nc_u32_e32 v0, v0, v26
	s_wait_loadcnt 0x0
	v_add_co_u32 v26, vcc_lo, v34, v10
	s_delay_alu instid0(VALU_DEP_2) | instskip(SKIP_1) | instid1(VALU_DEP_1)
	v_add_nc_u32_e32 v0, v0, v27
	s_wait_alu 0xfffd
	v_add_co_ci_u32_e64 v27, null, v35, v0, vcc_lo
	global_load_b64 v[26:27], v[26:27], off scope:SCOPE_SYS
	s_wait_loadcnt 0x0
	global_atomic_cmpswap_b64 v[34:35], v11, v[26:29], s[2:3] offset:24 th:TH_ATOMIC_RETURN scope:SCOPE_SYS
	s_wait_loadcnt 0x0
	global_inv scope:SCOPE_SYS
	v_cmpx_ne_u64_e64 v[34:35], v[28:29]
	s_cbranch_execz .LBB1_64
; %bb.61:                               ;   in Loop: Header=BB1_3 Depth=1
	s_mov_b32 s5, 0
.LBB1_62:                               ;   Parent Loop BB1_3 Depth=1
                                        ; =>  This Inner Loop Header: Depth=2
	s_sleep 1
	s_clause 0x1
	global_load_b64 v[26:27], v11, s[2:3] offset:40
	global_load_b64 v[36:37], v11, s[2:3]
	v_dual_mov_b32 v28, v34 :: v_dual_mov_b32 v29, v35
	s_wait_loadcnt 0x1
	s_delay_alu instid0(VALU_DEP_1) | instskip(NEXT) | instid1(VALU_DEP_2)
	v_and_b32_e32 v0, v26, v28
	v_and_b32_e32 v10, v27, v29
	s_wait_loadcnt 0x0
	s_delay_alu instid0(VALU_DEP_2) | instskip(NEXT) | instid1(VALU_DEP_1)
	v_mad_co_u64_u32 v[34:35], null, v0, 24, v[36:37]
	v_mov_b32_e32 v0, v35
	s_delay_alu instid0(VALU_DEP_1) | instskip(NEXT) | instid1(VALU_DEP_1)
	v_mad_co_u64_u32 v[26:27], null, v10, 24, v[0:1]
	v_mov_b32_e32 v35, v26
	global_load_b64 v[26:27], v[34:35], off scope:SCOPE_SYS
	s_wait_loadcnt 0x0
	global_atomic_cmpswap_b64 v[34:35], v11, v[26:29], s[2:3] offset:24 th:TH_ATOMIC_RETURN scope:SCOPE_SYS
	s_wait_loadcnt 0x0
	global_inv scope:SCOPE_SYS
	v_cmp_eq_u64_e32 vcc_lo, v[34:35], v[28:29]
	s_wait_alu 0xfffe
	s_or_b32 s5, vcc_lo, s5
	s_wait_alu 0xfffe
	s_and_not1_b32 exec_lo, exec_lo, s5
	s_cbranch_execnz .LBB1_62
; %bb.63:                               ;   in Loop: Header=BB1_3 Depth=1
	s_or_b32 exec_lo, exec_lo, s5
.LBB1_64:                               ;   in Loop: Header=BB1_3 Depth=1
	s_wait_alu 0xfffe
	s_or_b32 exec_lo, exec_lo, s4
.LBB1_65:                               ;   in Loop: Header=BB1_3 Depth=1
	s_wait_alu 0xfffe
	s_or_b32 exec_lo, exec_lo, s1
	s_wait_kmcnt 0x0
	s_clause 0x1
	global_load_b64 v[36:37], v11, s[2:3] offset:40
	global_load_b128 v[26:29], v11, s[2:3]
	v_readfirstlane_b32 s5, v35
	v_readfirstlane_b32 s4, v34
	s_mov_b32 s1, exec_lo
	s_wait_loadcnt 0x1
	s_wait_alu 0xf1ff
	v_and_b32_e32 v37, s5, v37
	v_and_b32_e32 v36, s4, v36
	s_delay_alu instid0(VALU_DEP_2) | instskip(NEXT) | instid1(VALU_DEP_2)
	v_mul_lo_u32 v0, 24, v37
	v_mul_lo_u32 v10, 0, v36
	v_mul_hi_u32 v34, 24, v36
	v_mul_lo_u32 v35, 24, v36
	s_delay_alu instid0(VALU_DEP_3) | instskip(NEXT) | instid1(VALU_DEP_1)
	v_add_nc_u32_e32 v0, v0, v10
	v_add_nc_u32_e32 v0, v0, v34
	s_wait_loadcnt 0x0
	s_delay_alu instid0(VALU_DEP_3) | instskip(SKIP_1) | instid1(VALU_DEP_2)
	v_add_co_u32 v34, vcc_lo, v26, v35
	s_wait_alu 0xfffd
	v_add_co_ci_u32_e64 v35, null, v27, v0, vcc_lo
	s_and_saveexec_b32 s10, s0
	s_cbranch_execz .LBB1_67
; %bb.66:                               ;   in Loop: Header=BB1_3 Depth=1
	s_wait_alu 0xfffe
	v_mov_b32_e32 v10, s1
	global_store_b128 v[34:35], v[10:13], off offset:8
.LBB1_67:                               ;   in Loop: Header=BB1_3 Depth=1
	s_wait_alu 0xfffe
	s_or_b32 exec_lo, exec_lo, s10
	v_cmp_gt_u64_e32 vcc_lo, 57, v[4:5]
	v_lshlrev_b64_e32 v[36:37], 12, v[36:37]
	v_and_b32_e32 v6, 0xffffff1f, v6
	v_lshl_add_u32 v10, v32, 2, 28
	s_wait_alu 0xfffd
	v_cndmask_b32_e32 v0, 0, v2, vcc_lo
	s_delay_alu instid0(VALU_DEP_1) | instskip(SKIP_3) | instid1(VALU_DEP_3)
	v_or_b32_e32 v6, v6, v0
	v_add_co_u32 v0, vcc_lo, v28, v36
	s_wait_alu 0xfffd
	v_add_co_ci_u32_e64 v28, null, v29, v37, vcc_lo
	v_and_or_b32 v6, 0x1e0, v10, v6
	v_lshlrev_b32_e32 v29, 6, v38
	v_readfirstlane_b32 s10, v0
	s_delay_alu instid0(VALU_DEP_4)
	v_readfirstlane_b32 s11, v28
	s_clause 0x3
	global_store_b128 v29, v[6:9], s[10:11]
	global_store_b128 v29, v[14:17], s[10:11] offset:16
	global_store_b128 v29, v[18:21], s[10:11] offset:32
	;; [unrolled: 1-line block ×3, first 2 shown]
	s_and_saveexec_b32 s1, s0
	s_cbranch_execz .LBB1_75
; %bb.68:                               ;   in Loop: Header=BB1_3 Depth=1
	s_clause 0x1
	global_load_b64 v[18:19], v11, s[2:3] offset:32 scope:SCOPE_SYS
	global_load_b64 v[6:7], v11, s[2:3] offset:40
	s_mov_b32 s10, exec_lo
	v_dual_mov_b32 v16, s4 :: v_dual_mov_b32 v17, s5
	s_wait_loadcnt 0x0
	v_and_b32_e32 v6, s4, v6
	v_and_b32_e32 v7, s5, v7
	s_delay_alu instid0(VALU_DEP_2) | instskip(NEXT) | instid1(VALU_DEP_2)
	v_mul_lo_u32 v8, 0, v6
	v_mul_lo_u32 v7, 24, v7
	v_mul_hi_u32 v9, 24, v6
	v_mul_lo_u32 v6, 24, v6
	s_delay_alu instid0(VALU_DEP_3) | instskip(NEXT) | instid1(VALU_DEP_2)
	v_add_nc_u32_e32 v7, v7, v8
	v_add_co_u32 v14, vcc_lo, v26, v6
	s_delay_alu instid0(VALU_DEP_2) | instskip(SKIP_1) | instid1(VALU_DEP_1)
	v_add_nc_u32_e32 v7, v7, v9
	s_wait_alu 0xfffd
	v_add_co_ci_u32_e64 v15, null, v27, v7, vcc_lo
	global_store_b64 v[14:15], v[18:19], off
	global_wb scope:SCOPE_SYS
	s_wait_storecnt 0x0
	global_atomic_cmpswap_b64 v[8:9], v11, v[16:19], s[2:3] offset:32 th:TH_ATOMIC_RETURN scope:SCOPE_SYS
	s_wait_loadcnt 0x0
	v_cmpx_ne_u64_e64 v[8:9], v[18:19]
	s_cbranch_execz .LBB1_71
; %bb.69:                               ;   in Loop: Header=BB1_3 Depth=1
	s_mov_b32 s11, 0
.LBB1_70:                               ;   Parent Loop BB1_3 Depth=1
                                        ; =>  This Inner Loop Header: Depth=2
	v_dual_mov_b32 v6, s4 :: v_dual_mov_b32 v7, s5
	s_sleep 1
	global_store_b64 v[14:15], v[8:9], off
	global_wb scope:SCOPE_SYS
	s_wait_storecnt 0x0
	global_atomic_cmpswap_b64 v[6:7], v11, v[6:9], s[2:3] offset:32 th:TH_ATOMIC_RETURN scope:SCOPE_SYS
	s_wait_loadcnt 0x0
	v_cmp_eq_u64_e32 vcc_lo, v[6:7], v[8:9]
	v_dual_mov_b32 v9, v7 :: v_dual_mov_b32 v8, v6
	s_wait_alu 0xfffe
	s_or_b32 s11, vcc_lo, s11
	s_wait_alu 0xfffe
	s_and_not1_b32 exec_lo, exec_lo, s11
	s_cbranch_execnz .LBB1_70
.LBB1_71:                               ;   in Loop: Header=BB1_3 Depth=1
	s_wait_alu 0xfffe
	s_or_b32 exec_lo, exec_lo, s10
	global_load_b64 v[6:7], v11, s[2:3] offset:16
	s_mov_b32 s11, exec_lo
	s_mov_b32 s10, exec_lo
	s_wait_alu 0xfffe
	v_mbcnt_lo_u32_b32 v8, s11, 0
	s_delay_alu instid0(VALU_DEP_1)
	v_cmpx_eq_u32_e32 0, v8
	s_cbranch_execz .LBB1_73
; %bb.72:                               ;   in Loop: Header=BB1_3 Depth=1
	s_bcnt1_i32_b32 s11, s11
	s_wait_alu 0xfffe
	v_mov_b32_e32 v10, s11
	global_wb scope:SCOPE_SYS
	s_wait_loadcnt 0x0
	s_wait_storecnt 0x0
	global_atomic_add_u64 v[6:7], v[10:11], off offset:8 scope:SCOPE_SYS
.LBB1_73:                               ;   in Loop: Header=BB1_3 Depth=1
	s_or_b32 exec_lo, exec_lo, s10
	s_wait_loadcnt 0x0
	global_load_b64 v[8:9], v[6:7], off offset:16
	s_wait_loadcnt 0x0
	v_cmp_eq_u64_e32 vcc_lo, 0, v[8:9]
	s_cbranch_vccnz .LBB1_75
; %bb.74:                               ;   in Loop: Header=BB1_3 Depth=1
	global_load_b32 v10, v[6:7], off offset:24
	s_wait_loadcnt 0x0
	v_readfirstlane_b32 s10, v10
	global_wb scope:SCOPE_SYS
	s_wait_storecnt 0x0
	global_store_b64 v[8:9], v[10:11], off scope:SCOPE_SYS
	s_and_b32 m0, s10, 0xffffff
	s_sendmsg sendmsg(MSG_INTERRUPT)
.LBB1_75:                               ;   in Loop: Header=BB1_3 Depth=1
	s_wait_alu 0xfffe
	s_or_b32 exec_lo, exec_lo, s1
	v_add_co_u32 v6, vcc_lo, v0, v29
	s_wait_alu 0xfffd
	v_add_co_ci_u32_e64 v7, null, 0, v28, vcc_lo
	s_branch .LBB1_79
.LBB1_76:                               ;   in Loop: Header=BB1_79 Depth=2
	s_wait_alu 0xfffe
	s_or_b32 exec_lo, exec_lo, s1
	s_delay_alu instid0(VALU_DEP_1)
	v_readfirstlane_b32 s1, v0
	s_cmp_eq_u32 s1, 0
	s_cbranch_scc1 .LBB1_78
; %bb.77:                               ;   in Loop: Header=BB1_79 Depth=2
	s_sleep 1
	s_cbranch_execnz .LBB1_79
	s_branch .LBB1_81
.LBB1_78:                               ;   in Loop: Header=BB1_3 Depth=1
	s_branch .LBB1_81
.LBB1_79:                               ;   Parent Loop BB1_3 Depth=1
                                        ; =>  This Inner Loop Header: Depth=2
	v_mov_b32_e32 v0, 1
	s_and_saveexec_b32 s1, s0
	s_cbranch_execz .LBB1_76
; %bb.80:                               ;   in Loop: Header=BB1_79 Depth=2
	global_load_b32 v0, v[34:35], off offset:20 scope:SCOPE_SYS
	s_wait_loadcnt 0x0
	global_inv scope:SCOPE_SYS
	v_and_b32_e32 v0, 1, v0
	s_branch .LBB1_76
.LBB1_81:                               ;   in Loop: Header=BB1_3 Depth=1
	global_load_b64 v[6:7], v[6:7], off
	s_and_saveexec_b32 s10, s0
	s_cbranch_execz .LBB1_2
; %bb.82:                               ;   in Loop: Header=BB1_3 Depth=1
	s_clause 0x2
	global_load_b64 v[8:9], v11, s[2:3] offset:40
	global_load_b64 v[18:19], v11, s[2:3] offset:24 scope:SCOPE_SYS
	global_load_b64 v[14:15], v11, s[2:3]
	s_wait_loadcnt 0x2
	v_readfirstlane_b32 s12, v8
	v_readfirstlane_b32 s13, v9
	s_add_nc_u64 s[0:1], s[12:13], 1
	s_wait_alu 0xfffe
	s_add_nc_u64 s[4:5], s[0:1], s[4:5]
	s_wait_alu 0xfffe
	s_cmp_eq_u64 s[4:5], 0
	s_cselect_b32 s1, s1, s5
	s_cselect_b32 s0, s0, s4
	s_wait_alu 0xfffe
	v_dual_mov_b32 v17, s1 :: v_dual_mov_b32 v16, s0
	s_and_b64 s[4:5], s[0:1], s[12:13]
	s_wait_alu 0xfffe
	s_mul_u64 s[4:5], s[4:5], 24
	s_wait_loadcnt 0x0
	s_wait_alu 0xfffe
	v_add_co_u32 v8, vcc_lo, v14, s4
	s_wait_alu 0xfffd
	v_add_co_ci_u32_e64 v9, null, s5, v15, vcc_lo
	global_store_b64 v[8:9], v[18:19], off
	global_wb scope:SCOPE_SYS
	s_wait_storecnt 0x0
	global_atomic_cmpswap_b64 v[16:17], v11, v[16:19], s[2:3] offset:24 th:TH_ATOMIC_RETURN scope:SCOPE_SYS
	s_wait_loadcnt 0x0
	v_cmp_ne_u64_e32 vcc_lo, v[16:17], v[18:19]
	s_and_b32 exec_lo, exec_lo, vcc_lo
	s_cbranch_execz .LBB1_2
; %bb.83:                               ;   in Loop: Header=BB1_3 Depth=1
	s_mov_b32 s4, 0
.LBB1_84:                               ;   Parent Loop BB1_3 Depth=1
                                        ; =>  This Inner Loop Header: Depth=2
	v_dual_mov_b32 v14, s0 :: v_dual_mov_b32 v15, s1
	s_sleep 1
	global_store_b64 v[8:9], v[16:17], off
	global_wb scope:SCOPE_SYS
	s_wait_storecnt 0x0
	global_atomic_cmpswap_b64 v[14:15], v11, v[14:17], s[2:3] offset:24 th:TH_ATOMIC_RETURN scope:SCOPE_SYS
	s_wait_loadcnt 0x0
	v_cmp_eq_u64_e32 vcc_lo, v[14:15], v[16:17]
	v_dual_mov_b32 v17, v15 :: v_dual_mov_b32 v16, v14
	s_wait_alu 0xfffe
	s_or_b32 s4, vcc_lo, s4
	s_wait_alu 0xfffe
	s_and_not1_b32 exec_lo, exec_lo, s4
	s_cbranch_execnz .LBB1_84
	s_branch .LBB1_2
.LBB1_85:
	s_or_b32 exec_lo, exec_lo, s6
.LBB1_86:
	s_wait_loadcnt 0x0
	v_dual_mov_b32 v0, v6 :: v_dual_mov_b32 v1, v7
	s_wait_kmcnt 0x0
	s_setpc_b64 s[30:31]
.LBB1_87:
                                        ; implicit-def: $vgpr6_vgpr7
	s_cbranch_execz .LBB1_86
; %bb.88:
	s_load_b64 s[2:3], s[8:9], 0x50
	v_readfirstlane_b32 s0, v38
	v_mov_b32_e32 v8, 0
	v_mov_b32_e32 v9, 0
	s_wait_alu 0xf1ff
	s_delay_alu instid0(VALU_DEP_3)
	v_cmp_eq_u32_e64 s0, s0, v38
	s_and_saveexec_b32 s1, s0
	s_cbranch_execz .LBB1_94
; %bb.89:
	v_mov_b32_e32 v0, 0
	s_mov_b32 s4, exec_lo
	s_wait_loadcnt 0x0
	s_wait_kmcnt 0x0
	global_load_b64 v[6:7], v0, s[2:3] offset:24 scope:SCOPE_SYS
	s_wait_loadcnt 0x0
	global_inv scope:SCOPE_SYS
	s_clause 0x1
	global_load_b64 v[4:5], v0, s[2:3] offset:40
	global_load_b64 v[8:9], v0, s[2:3]
	s_wait_loadcnt 0x1
	v_and_b32_e32 v2, v5, v7
	v_and_b32_e32 v4, v4, v6
	s_delay_alu instid0(VALU_DEP_2) | instskip(NEXT) | instid1(VALU_DEP_2)
	v_mul_lo_u32 v2, 24, v2
	v_mul_lo_u32 v5, 0, v4
	v_mul_hi_u32 v10, 24, v4
	v_mul_lo_u32 v4, 24, v4
	s_delay_alu instid0(VALU_DEP_3) | instskip(SKIP_1) | instid1(VALU_DEP_2)
	v_add_nc_u32_e32 v2, v2, v5
	s_wait_loadcnt 0x0
	v_add_co_u32 v4, vcc_lo, v8, v4
	s_delay_alu instid0(VALU_DEP_2) | instskip(SKIP_1) | instid1(VALU_DEP_1)
	v_add_nc_u32_e32 v2, v2, v10
	s_wait_alu 0xfffd
	v_add_co_ci_u32_e64 v5, null, v9, v2, vcc_lo
	global_load_b64 v[4:5], v[4:5], off scope:SCOPE_SYS
	s_wait_loadcnt 0x0
	global_atomic_cmpswap_b64 v[8:9], v0, v[4:7], s[2:3] offset:24 th:TH_ATOMIC_RETURN scope:SCOPE_SYS
	s_wait_loadcnt 0x0
	global_inv scope:SCOPE_SYS
	v_cmpx_ne_u64_e64 v[8:9], v[6:7]
	s_cbranch_execz .LBB1_93
; %bb.90:
	s_mov_b32 s5, 0
.LBB1_91:                               ; =>This Inner Loop Header: Depth=1
	s_sleep 1
	s_clause 0x1
	global_load_b64 v[4:5], v0, s[2:3] offset:40
	global_load_b64 v[10:11], v0, s[2:3]
	v_dual_mov_b32 v6, v8 :: v_dual_mov_b32 v7, v9
	s_wait_loadcnt 0x1
	s_delay_alu instid0(VALU_DEP_1) | instskip(NEXT) | instid1(VALU_DEP_2)
	v_and_b32_e32 v2, v4, v6
	v_and_b32_e32 v4, v5, v7
	s_wait_loadcnt 0x0
	s_delay_alu instid0(VALU_DEP_2) | instskip(NEXT) | instid1(VALU_DEP_1)
	v_mad_co_u64_u32 v[8:9], null, v2, 24, v[10:11]
	v_mov_b32_e32 v2, v9
	s_delay_alu instid0(VALU_DEP_1) | instskip(NEXT) | instid1(VALU_DEP_1)
	v_mad_co_u64_u32 v[4:5], null, v4, 24, v[2:3]
	v_mov_b32_e32 v9, v4
	global_load_b64 v[4:5], v[8:9], off scope:SCOPE_SYS
	s_wait_loadcnt 0x0
	global_atomic_cmpswap_b64 v[8:9], v0, v[4:7], s[2:3] offset:24 th:TH_ATOMIC_RETURN scope:SCOPE_SYS
	s_wait_loadcnt 0x0
	global_inv scope:SCOPE_SYS
	v_cmp_eq_u64_e32 vcc_lo, v[8:9], v[6:7]
	s_wait_alu 0xfffe
	s_or_b32 s5, vcc_lo, s5
	s_wait_alu 0xfffe
	s_and_not1_b32 exec_lo, exec_lo, s5
	s_cbranch_execnz .LBB1_91
; %bb.92:
	s_or_b32 exec_lo, exec_lo, s5
.LBB1_93:
	s_wait_alu 0xfffe
	s_or_b32 exec_lo, exec_lo, s4
.LBB1_94:
	s_wait_alu 0xfffe
	s_or_b32 exec_lo, exec_lo, s1
	v_readfirstlane_b32 s5, v9
	v_mov_b32_e32 v2, 0
	v_readfirstlane_b32 s4, v8
	s_mov_b32 s1, exec_lo
	s_wait_kmcnt 0x0
	global_load_b64 v[10:11], v2, s[2:3] offset:40
	s_wait_loadcnt 0x1
	global_load_b128 v[4:7], v2, s[2:3]
	s_wait_loadcnt 0x1
	s_wait_alu 0xf1ff
	v_and_b32_e32 v11, s5, v11
	v_and_b32_e32 v10, s4, v10
	s_delay_alu instid0(VALU_DEP_2) | instskip(NEXT) | instid1(VALU_DEP_2)
	v_mul_lo_u32 v0, 24, v11
	v_mul_lo_u32 v8, 0, v10
	v_mul_hi_u32 v9, 24, v10
	v_mul_lo_u32 v12, 24, v10
	s_delay_alu instid0(VALU_DEP_3) | instskip(SKIP_1) | instid1(VALU_DEP_2)
	v_add_nc_u32_e32 v0, v0, v8
	s_wait_loadcnt 0x0
	v_add_co_u32 v8, vcc_lo, v4, v12
	s_delay_alu instid0(VALU_DEP_2) | instskip(SKIP_1) | instid1(VALU_DEP_1)
	v_add_nc_u32_e32 v0, v0, v9
	s_wait_alu 0xfffd
	v_add_co_ci_u32_e64 v9, null, v5, v0, vcc_lo
	s_and_saveexec_b32 s6, s0
	s_cbranch_execz .LBB1_96
; %bb.95:
	s_wait_alu 0xfffe
	v_dual_mov_b32 v12, s1 :: v_dual_mov_b32 v13, v2
	v_dual_mov_b32 v14, 2 :: v_dual_mov_b32 v15, 1
	global_store_b128 v[8:9], v[12:15], off offset:8
.LBB1_96:
	s_wait_alu 0xfffe
	s_or_b32 exec_lo, exec_lo, s6
	v_lshlrev_b64_e32 v[10:11], 12, v[10:11]
	v_lshlrev_b32_e32 v14, 6, v38
	s_mov_b32 s8, 0
	v_and_or_b32 v0, 0xffffff1f, v3, 32
	v_mov_b32_e32 v3, v2
	s_wait_alu 0xfffe
	s_mov_b32 s11, s8
	v_add_co_u32 v6, vcc_lo, v6, v10
	s_wait_alu 0xfffd
	v_add_co_ci_u32_e64 v7, null, v7, v11, vcc_lo
	s_mov_b32 s9, s8
	v_readfirstlane_b32 s6, v6
	v_add_co_u32 v6, vcc_lo, v6, v14
	s_mov_b32 s10, s8
	v_readfirstlane_b32 s7, v7
	s_wait_alu 0xfffe
	v_dual_mov_b32 v13, s11 :: v_dual_mov_b32 v12, s10
	s_wait_alu 0xfffd
	v_add_co_ci_u32_e64 v7, null, 0, v7, vcc_lo
	v_dual_mov_b32 v11, s9 :: v_dual_mov_b32 v10, s8
	s_clause 0x3
	global_store_b128 v14, v[0:3], s[6:7]
	global_store_b128 v14, v[10:13], s[6:7] offset:16
	global_store_b128 v14, v[10:13], s[6:7] offset:32
	;; [unrolled: 1-line block ×3, first 2 shown]
	s_and_saveexec_b32 s1, s0
	s_cbranch_execz .LBB1_104
; %bb.97:
	v_mov_b32_e32 v10, 0
	s_mov_b32 s6, exec_lo
	s_clause 0x1
	global_load_b64 v[13:14], v10, s[2:3] offset:32 scope:SCOPE_SYS
	global_load_b64 v[0:1], v10, s[2:3] offset:40
	v_dual_mov_b32 v11, s4 :: v_dual_mov_b32 v12, s5
	s_wait_loadcnt 0x0
	v_and_b32_e32 v1, s5, v1
	v_and_b32_e32 v0, s4, v0
	s_delay_alu instid0(VALU_DEP_2) | instskip(NEXT) | instid1(VALU_DEP_2)
	v_mul_lo_u32 v1, 24, v1
	v_mul_lo_u32 v2, 0, v0
	v_mul_hi_u32 v3, 24, v0
	v_mul_lo_u32 v0, 24, v0
	s_delay_alu instid0(VALU_DEP_3) | instskip(NEXT) | instid1(VALU_DEP_2)
	v_add_nc_u32_e32 v1, v1, v2
	v_add_co_u32 v4, vcc_lo, v4, v0
	s_delay_alu instid0(VALU_DEP_2) | instskip(SKIP_1) | instid1(VALU_DEP_1)
	v_add_nc_u32_e32 v1, v1, v3
	s_wait_alu 0xfffd
	v_add_co_ci_u32_e64 v5, null, v5, v1, vcc_lo
	global_store_b64 v[4:5], v[13:14], off
	global_wb scope:SCOPE_SYS
	s_wait_storecnt 0x0
	global_atomic_cmpswap_b64 v[2:3], v10, v[11:14], s[2:3] offset:32 th:TH_ATOMIC_RETURN scope:SCOPE_SYS
	s_wait_loadcnt 0x0
	v_cmpx_ne_u64_e64 v[2:3], v[13:14]
	s_cbranch_execz .LBB1_100
; %bb.98:
	s_mov_b32 s7, 0
.LBB1_99:                               ; =>This Inner Loop Header: Depth=1
	v_dual_mov_b32 v0, s4 :: v_dual_mov_b32 v1, s5
	s_sleep 1
	global_store_b64 v[4:5], v[2:3], off
	global_wb scope:SCOPE_SYS
	s_wait_storecnt 0x0
	global_atomic_cmpswap_b64 v[0:1], v10, v[0:3], s[2:3] offset:32 th:TH_ATOMIC_RETURN scope:SCOPE_SYS
	s_wait_loadcnt 0x0
	v_cmp_eq_u64_e32 vcc_lo, v[0:1], v[2:3]
	v_dual_mov_b32 v3, v1 :: v_dual_mov_b32 v2, v0
	s_wait_alu 0xfffe
	s_or_b32 s7, vcc_lo, s7
	s_wait_alu 0xfffe
	s_and_not1_b32 exec_lo, exec_lo, s7
	s_cbranch_execnz .LBB1_99
.LBB1_100:
	s_wait_alu 0xfffe
	s_or_b32 exec_lo, exec_lo, s6
	v_mov_b32_e32 v3, 0
	s_mov_b32 s7, exec_lo
	s_mov_b32 s6, exec_lo
	s_wait_alu 0xfffe
	v_mbcnt_lo_u32_b32 v2, s7, 0
	global_load_b64 v[0:1], v3, s[2:3] offset:16
	v_cmpx_eq_u32_e32 0, v2
	s_cbranch_execz .LBB1_102
; %bb.101:
	s_bcnt1_i32_b32 s7, s7
	s_wait_alu 0xfffe
	v_mov_b32_e32 v2, s7
	global_wb scope:SCOPE_SYS
	s_wait_loadcnt 0x0
	s_wait_storecnt 0x0
	global_atomic_add_u64 v[0:1], v[2:3], off offset:8 scope:SCOPE_SYS
.LBB1_102:
	s_or_b32 exec_lo, exec_lo, s6
	s_wait_loadcnt 0x0
	global_load_b64 v[2:3], v[0:1], off offset:16
	s_wait_loadcnt 0x0
	v_cmp_eq_u64_e32 vcc_lo, 0, v[2:3]
	s_cbranch_vccnz .LBB1_104
; %bb.103:
	global_load_b32 v0, v[0:1], off offset:24
	v_mov_b32_e32 v1, 0
	s_wait_loadcnt 0x0
	v_readfirstlane_b32 s6, v0
	global_wb scope:SCOPE_SYS
	s_wait_storecnt 0x0
	global_store_b64 v[2:3], v[0:1], off scope:SCOPE_SYS
	s_and_b32 m0, s6, 0xffffff
	s_sendmsg sendmsg(MSG_INTERRUPT)
.LBB1_104:
	s_wait_alu 0xfffe
	s_or_b32 exec_lo, exec_lo, s1
	s_branch .LBB1_108
.LBB1_105:                              ;   in Loop: Header=BB1_108 Depth=1
	s_wait_alu 0xfffe
	s_or_b32 exec_lo, exec_lo, s1
	s_delay_alu instid0(VALU_DEP_1)
	v_readfirstlane_b32 s1, v0
	s_cmp_eq_u32 s1, 0
	s_cbranch_scc1 .LBB1_107
; %bb.106:                              ;   in Loop: Header=BB1_108 Depth=1
	s_sleep 1
	s_cbranch_execnz .LBB1_108
	s_branch .LBB1_110
.LBB1_107:
	s_branch .LBB1_110
.LBB1_108:                              ; =>This Inner Loop Header: Depth=1
	v_mov_b32_e32 v0, 1
	s_and_saveexec_b32 s1, s0
	s_cbranch_execz .LBB1_105
; %bb.109:                              ;   in Loop: Header=BB1_108 Depth=1
	global_load_b32 v0, v[8:9], off offset:20 scope:SCOPE_SYS
	s_wait_loadcnt 0x0
	global_inv scope:SCOPE_SYS
	v_and_b32_e32 v0, 1, v0
	s_branch .LBB1_105
.LBB1_110:
	global_load_b64 v[6:7], v[6:7], off
	s_and_saveexec_b32 s6, s0
	s_cbranch_execz .LBB1_114
; %bb.111:
	v_mov_b32_e32 v8, 0
	s_clause 0x2
	global_load_b64 v[0:1], v8, s[2:3] offset:40
	global_load_b64 v[11:12], v8, s[2:3] offset:24 scope:SCOPE_SYS
	global_load_b64 v[2:3], v8, s[2:3]
	s_wait_loadcnt 0x2
	v_readfirstlane_b32 s8, v0
	v_readfirstlane_b32 s9, v1
	s_add_nc_u64 s[0:1], s[8:9], 1
	s_wait_alu 0xfffe
	s_add_nc_u64 s[4:5], s[0:1], s[4:5]
	s_wait_alu 0xfffe
	s_cmp_eq_u64 s[4:5], 0
	s_cselect_b32 s1, s1, s5
	s_cselect_b32 s0, s0, s4
	s_wait_alu 0xfffe
	v_mov_b32_e32 v10, s1
	s_and_b64 s[4:5], s[0:1], s[8:9]
	v_mov_b32_e32 v9, s0
	s_wait_alu 0xfffe
	s_mul_u64 s[4:5], s[4:5], 24
	s_wait_loadcnt 0x0
	s_wait_alu 0xfffe
	v_add_co_u32 v4, vcc_lo, v2, s4
	s_wait_alu 0xfffd
	v_add_co_ci_u32_e64 v5, null, s5, v3, vcc_lo
	global_store_b64 v[4:5], v[11:12], off
	global_wb scope:SCOPE_SYS
	s_wait_storecnt 0x0
	global_atomic_cmpswap_b64 v[2:3], v8, v[9:12], s[2:3] offset:24 th:TH_ATOMIC_RETURN scope:SCOPE_SYS
	s_wait_loadcnt 0x0
	v_cmp_ne_u64_e32 vcc_lo, v[2:3], v[11:12]
	s_and_b32 exec_lo, exec_lo, vcc_lo
	s_cbranch_execz .LBB1_114
; %bb.112:
	s_mov_b32 s4, 0
.LBB1_113:                              ; =>This Inner Loop Header: Depth=1
	v_dual_mov_b32 v0, s0 :: v_dual_mov_b32 v1, s1
	s_sleep 1
	global_store_b64 v[4:5], v[2:3], off
	global_wb scope:SCOPE_SYS
	s_wait_storecnt 0x0
	global_atomic_cmpswap_b64 v[0:1], v8, v[0:3], s[2:3] offset:24 th:TH_ATOMIC_RETURN scope:SCOPE_SYS
	s_wait_loadcnt 0x0
	v_cmp_eq_u64_e32 vcc_lo, v[0:1], v[2:3]
	v_dual_mov_b32 v3, v1 :: v_dual_mov_b32 v2, v0
	s_wait_alu 0xfffe
	s_or_b32 s4, vcc_lo, s4
	s_wait_alu 0xfffe
	s_and_not1_b32 exec_lo, exec_lo, s4
	s_cbranch_execnz .LBB1_113
.LBB1_114:
	s_wait_alu 0xfffe
	s_or_b32 exec_lo, exec_lo, s6
	s_wait_loadcnt 0x0
	v_dual_mov_b32 v0, v6 :: v_dual_mov_b32 v1, v7
	s_wait_kmcnt 0x0
	s_setpc_b64 s[30:31]
.Lfunc_end1:
	.size	__ockl_printf_append_string_n, .Lfunc_end1-__ockl_printf_append_string_n
                                        ; -- End function
	.set .L__ockl_printf_append_string_n.num_vgpr, 39
	.set .L__ockl_printf_append_string_n.num_agpr, 0
	.set .L__ockl_printf_append_string_n.numbered_sgpr, 32
	.set .L__ockl_printf_append_string_n.num_named_barrier, 0
	.set .L__ockl_printf_append_string_n.private_seg_size, 0
	.set .L__ockl_printf_append_string_n.uses_vcc, 1
	.set .L__ockl_printf_append_string_n.uses_flat_scratch, 0
	.set .L__ockl_printf_append_string_n.has_dyn_sized_stack, 0
	.set .L__ockl_printf_append_string_n.has_recursion, 0
	.set .L__ockl_printf_append_string_n.has_indirect_call, 0
	.section	.AMDGPU.csdata,"",@progbits
; Function info:
; codeLenInByte = 5328
; TotalNumSgprs: 34
; NumVgprs: 39
; ScratchSize: 0
; MemoryBound: 0
	.text
	.p2align	2                               ; -- Begin function __ockl_printf_append_args
	.type	__ockl_printf_append_args,@function
__ockl_printf_append_args:              ; @__ockl_printf_append_args
; %bb.0:
	s_wait_loadcnt_dscnt 0x0
	s_wait_expcnt 0x0
	s_wait_samplecnt 0x0
	s_wait_bvhcnt 0x0
	s_wait_kmcnt 0x0
	s_load_b64 s[2:3], s[8:9], 0x50
	v_mbcnt_lo_u32_b32 v17, -1, 0
	v_mov_b32_e32 v11, 0
	v_mov_b32_e32 v12, 0
	s_delay_alu instid0(VALU_DEP_3) | instskip(SKIP_1) | instid1(VALU_DEP_1)
	v_readfirstlane_b32 s0, v17
	s_wait_alu 0xf1ff
	v_cmp_eq_u32_e64 s0, s0, v17
	s_and_saveexec_b32 s1, s0
	s_cbranch_execz .LBB2_6
; %bb.1:
	v_mov_b32_e32 v5, 0
	s_mov_b32 s4, exec_lo
	s_wait_kmcnt 0x0
	global_load_b64 v[8:9], v5, s[2:3] offset:24 scope:SCOPE_SYS
	s_wait_loadcnt 0x0
	global_inv scope:SCOPE_SYS
	s_clause 0x1
	global_load_b64 v[6:7], v5, s[2:3] offset:40
	global_load_b64 v[10:11], v5, s[2:3]
	s_wait_loadcnt 0x1
	v_and_b32_e32 v7, v7, v9
	v_and_b32_e32 v6, v6, v8
	s_delay_alu instid0(VALU_DEP_2) | instskip(NEXT) | instid1(VALU_DEP_2)
	v_mul_lo_u32 v7, 24, v7
	v_mul_lo_u32 v12, 0, v6
	v_mul_hi_u32 v13, 24, v6
	v_mul_lo_u32 v6, 24, v6
	s_delay_alu instid0(VALU_DEP_3) | instskip(SKIP_1) | instid1(VALU_DEP_2)
	v_add_nc_u32_e32 v7, v7, v12
	s_wait_loadcnt 0x0
	v_add_co_u32 v6, vcc_lo, v10, v6
	s_delay_alu instid0(VALU_DEP_2) | instskip(SKIP_1) | instid1(VALU_DEP_1)
	v_add_nc_u32_e32 v7, v7, v13
	s_wait_alu 0xfffd
	v_add_co_ci_u32_e64 v7, null, v11, v7, vcc_lo
	global_load_b64 v[6:7], v[6:7], off scope:SCOPE_SYS
	s_wait_loadcnt 0x0
	global_atomic_cmpswap_b64 v[11:12], v5, v[6:9], s[2:3] offset:24 th:TH_ATOMIC_RETURN scope:SCOPE_SYS
	s_wait_loadcnt 0x0
	global_inv scope:SCOPE_SYS
	v_cmpx_ne_u64_e64 v[11:12], v[8:9]
	s_cbranch_execz .LBB2_5
; %bb.2:
	s_mov_b32 s5, 0
.LBB2_3:                                ; =>This Inner Loop Header: Depth=1
	s_sleep 1
	s_clause 0x1
	global_load_b64 v[6:7], v5, s[2:3] offset:40
	global_load_b64 v[13:14], v5, s[2:3]
	v_dual_mov_b32 v8, v11 :: v_dual_mov_b32 v9, v12
	s_wait_loadcnt 0x1
	s_delay_alu instid0(VALU_DEP_1) | instskip(NEXT) | instid1(VALU_DEP_2)
	v_and_b32_e32 v6, v6, v8
	v_and_b32_e32 v7, v7, v9
	s_wait_loadcnt 0x0
	s_delay_alu instid0(VALU_DEP_2) | instskip(NEXT) | instid1(VALU_DEP_1)
	v_mad_co_u64_u32 v[10:11], null, v6, 24, v[13:14]
	v_mov_b32_e32 v6, v11
	s_delay_alu instid0(VALU_DEP_1) | instskip(NEXT) | instid1(VALU_DEP_1)
	v_mad_co_u64_u32 v[6:7], null, v7, 24, v[6:7]
	v_mov_b32_e32 v11, v6
	global_load_b64 v[6:7], v[10:11], off scope:SCOPE_SYS
	s_wait_loadcnt 0x0
	global_atomic_cmpswap_b64 v[11:12], v5, v[6:9], s[2:3] offset:24 th:TH_ATOMIC_RETURN scope:SCOPE_SYS
	s_wait_loadcnt 0x0
	global_inv scope:SCOPE_SYS
	v_cmp_eq_u64_e32 vcc_lo, v[11:12], v[8:9]
	s_wait_alu 0xfffe
	s_or_b32 s5, vcc_lo, s5
	s_wait_alu 0xfffe
	s_and_not1_b32 exec_lo, exec_lo, s5
	s_cbranch_execnz .LBB2_3
; %bb.4:
	s_or_b32 exec_lo, exec_lo, s5
.LBB2_5:
	s_wait_alu 0xfffe
	s_or_b32 exec_lo, exec_lo, s4
.LBB2_6:
	s_wait_alu 0xfffe
	s_or_b32 exec_lo, exec_lo, s1
	v_readfirstlane_b32 s4, v11
	v_mov_b32_e32 v10, 0
	v_readfirstlane_b32 s5, v12
	s_mov_b32 s1, exec_lo
	s_wait_kmcnt 0x0
	s_clause 0x1
	global_load_b64 v[13:14], v10, s[2:3] offset:40
	global_load_b128 v[5:8], v10, s[2:3]
	s_wait_loadcnt 0x1
	s_wait_alu 0xf1ff
	v_and_b32_e32 v16, s5, v14
	v_and_b32_e32 v15, s4, v13
	s_delay_alu instid0(VALU_DEP_2) | instskip(NEXT) | instid1(VALU_DEP_2)
	v_mul_lo_u32 v9, 24, v16
	v_mul_lo_u32 v11, 0, v15
	v_mul_hi_u32 v12, 24, v15
	v_mul_lo_u32 v13, 24, v15
	s_delay_alu instid0(VALU_DEP_3) | instskip(SKIP_1) | instid1(VALU_DEP_2)
	v_add_nc_u32_e32 v9, v9, v11
	s_wait_loadcnt 0x0
	v_add_co_u32 v13, vcc_lo, v5, v13
	s_delay_alu instid0(VALU_DEP_2) | instskip(SKIP_1) | instid1(VALU_DEP_1)
	v_add_nc_u32_e32 v9, v9, v12
	s_wait_alu 0xfffd
	v_add_co_ci_u32_e64 v14, null, v6, v9, vcc_lo
	s_and_saveexec_b32 s6, s0
	s_cbranch_execz .LBB2_8
; %bb.7:
	s_wait_alu 0xfffe
	v_dual_mov_b32 v9, s1 :: v_dual_mov_b32 v12, 1
	v_mov_b32_e32 v11, 2
	global_store_b128 v[13:14], v[9:12], off offset:8
.LBB2_8:
	s_wait_alu 0xfffe
	s_or_b32 exec_lo, exec_lo, s6
	v_lshlrev_b64_e32 v[9:10], 12, v[15:16]
	v_or_b32_e32 v11, 2, v0
	v_cmp_eq_u32_e32 vcc_lo, 0, v4
	s_mov_b32 s8, 0
	s_wait_alu 0xfffe
	s_mov_b32 s9, s8
	s_mov_b32 s10, s8
	s_wait_alu 0xfffd
	v_dual_cndmask_b32 v0, v11, v0 :: v_dual_lshlrev_b32 v11, 6, v17
	v_add_co_u32 v4, vcc_lo, v7, v9
	s_wait_alu 0xfffd
	v_add_co_ci_u32_e64 v7, null, v8, v10, vcc_lo
	s_mov_b32 s11, s8
	v_and_or_b32 v0, 0xffffff1f, v0, 32
	v_readfirstlane_b32 s6, v4
	v_readfirstlane_b32 s7, v7
	s_wait_alu 0xfffe
	v_dual_mov_b32 v7, s8 :: v_dual_mov_b32 v8, s9
	v_dual_mov_b32 v9, s10 :: v_dual_mov_b32 v10, s11
	s_clause 0x3
	global_store_b128 v11, v[0:3], s[6:7]
	global_store_b128 v11, v[7:10], s[6:7] offset:16
	global_store_b128 v11, v[7:10], s[6:7] offset:32
	;; [unrolled: 1-line block ×3, first 2 shown]
	s_and_saveexec_b32 s1, s0
	s_cbranch_execz .LBB2_16
; %bb.9:
	v_mov_b32_e32 v7, 0
	v_mov_b32_e32 v9, s5
	s_mov_b32 s6, exec_lo
	s_clause 0x1
	global_load_b64 v[10:11], v7, s[2:3] offset:32 scope:SCOPE_SYS
	global_load_b64 v[0:1], v7, s[2:3] offset:40
	s_wait_loadcnt 0x0
	v_dual_mov_b32 v8, s4 :: v_dual_and_b32 v1, s5, v1
	v_and_b32_e32 v0, s4, v0
	s_delay_alu instid0(VALU_DEP_2) | instskip(NEXT) | instid1(VALU_DEP_2)
	v_mul_lo_u32 v1, 24, v1
	v_mul_lo_u32 v2, 0, v0
	v_mul_hi_u32 v3, 24, v0
	v_mul_lo_u32 v0, 24, v0
	s_delay_alu instid0(VALU_DEP_3) | instskip(NEXT) | instid1(VALU_DEP_2)
	v_add_nc_u32_e32 v1, v1, v2
	v_add_co_u32 v4, vcc_lo, v5, v0
	s_delay_alu instid0(VALU_DEP_2) | instskip(SKIP_1) | instid1(VALU_DEP_1)
	v_add_nc_u32_e32 v1, v1, v3
	s_wait_alu 0xfffd
	v_add_co_ci_u32_e64 v5, null, v6, v1, vcc_lo
	global_store_b64 v[4:5], v[10:11], off
	global_wb scope:SCOPE_SYS
	s_wait_storecnt 0x0
	global_atomic_cmpswap_b64 v[2:3], v7, v[8:11], s[2:3] offset:32 th:TH_ATOMIC_RETURN scope:SCOPE_SYS
	s_wait_loadcnt 0x0
	v_cmpx_ne_u64_e64 v[2:3], v[10:11]
	s_cbranch_execz .LBB2_12
; %bb.10:
	s_mov_b32 s7, 0
.LBB2_11:                               ; =>This Inner Loop Header: Depth=1
	v_dual_mov_b32 v0, s4 :: v_dual_mov_b32 v1, s5
	s_sleep 1
	global_store_b64 v[4:5], v[2:3], off
	global_wb scope:SCOPE_SYS
	s_wait_storecnt 0x0
	global_atomic_cmpswap_b64 v[0:1], v7, v[0:3], s[2:3] offset:32 th:TH_ATOMIC_RETURN scope:SCOPE_SYS
	s_wait_loadcnt 0x0
	v_cmp_eq_u64_e32 vcc_lo, v[0:1], v[2:3]
	v_dual_mov_b32 v3, v1 :: v_dual_mov_b32 v2, v0
	s_wait_alu 0xfffe
	s_or_b32 s7, vcc_lo, s7
	s_wait_alu 0xfffe
	s_and_not1_b32 exec_lo, exec_lo, s7
	s_cbranch_execnz .LBB2_11
.LBB2_12:
	s_wait_alu 0xfffe
	s_or_b32 exec_lo, exec_lo, s6
	v_mov_b32_e32 v3, 0
	s_mov_b32 s7, exec_lo
	s_mov_b32 s6, exec_lo
	s_wait_alu 0xfffe
	v_mbcnt_lo_u32_b32 v2, s7, 0
	global_load_b64 v[0:1], v3, s[2:3] offset:16
	v_cmpx_eq_u32_e32 0, v2
	s_cbranch_execz .LBB2_14
; %bb.13:
	s_bcnt1_i32_b32 s7, s7
	s_wait_alu 0xfffe
	v_mov_b32_e32 v2, s7
	global_wb scope:SCOPE_SYS
	s_wait_loadcnt 0x0
	s_wait_storecnt 0x0
	global_atomic_add_u64 v[0:1], v[2:3], off offset:8 scope:SCOPE_SYS
.LBB2_14:
	s_or_b32 exec_lo, exec_lo, s6
	s_wait_loadcnt 0x0
	global_load_b64 v[2:3], v[0:1], off offset:16
	s_wait_loadcnt 0x0
	v_cmp_eq_u64_e32 vcc_lo, 0, v[2:3]
	s_cbranch_vccnz .LBB2_16
; %bb.15:
	global_load_b32 v0, v[0:1], off offset:24
	v_mov_b32_e32 v1, 0
	s_wait_loadcnt 0x0
	v_readfirstlane_b32 s6, v0
	global_wb scope:SCOPE_SYS
	s_wait_storecnt 0x0
	global_store_b64 v[2:3], v[0:1], off scope:SCOPE_SYS
	s_and_b32 m0, s6, 0xffffff
	s_sendmsg sendmsg(MSG_INTERRUPT)
.LBB2_16:
	s_wait_alu 0xfffe
	s_or_b32 exec_lo, exec_lo, s1
	s_branch .LBB2_20
.LBB2_17:                               ;   in Loop: Header=BB2_20 Depth=1
	s_wait_alu 0xfffe
	s_or_b32 exec_lo, exec_lo, s1
	s_delay_alu instid0(VALU_DEP_1)
	v_readfirstlane_b32 s1, v0
	s_cmp_eq_u32 s1, 0
	s_cbranch_scc1 .LBB2_19
; %bb.18:                               ;   in Loop: Header=BB2_20 Depth=1
	s_sleep 1
	s_cbranch_execnz .LBB2_20
	s_branch .LBB2_22
.LBB2_19:
	s_branch .LBB2_22
.LBB2_20:                               ; =>This Inner Loop Header: Depth=1
	v_mov_b32_e32 v0, 1
	s_and_saveexec_b32 s1, s0
	s_cbranch_execz .LBB2_17
; %bb.21:                               ;   in Loop: Header=BB2_20 Depth=1
	global_load_b32 v0, v[13:14], off offset:20 scope:SCOPE_SYS
	s_wait_loadcnt 0x0
	global_inv scope:SCOPE_SYS
	v_and_b32_e32 v0, 1, v0
	s_branch .LBB2_17
.LBB2_22:
	s_and_saveexec_b32 s6, s0
	s_cbranch_execz .LBB2_26
; %bb.23:
	v_mov_b32_e32 v6, 0
	s_clause 0x2
	global_load_b64 v[0:1], v6, s[2:3] offset:40
	global_load_b64 v[9:10], v6, s[2:3] offset:24 scope:SCOPE_SYS
	global_load_b64 v[2:3], v6, s[2:3]
	s_wait_loadcnt 0x2
	v_readfirstlane_b32 s8, v0
	v_readfirstlane_b32 s9, v1
	s_add_nc_u64 s[0:1], s[8:9], 1
	s_wait_alu 0xfffe
	s_add_nc_u64 s[4:5], s[0:1], s[4:5]
	s_wait_alu 0xfffe
	s_cmp_eq_u64 s[4:5], 0
	s_cselect_b32 s1, s1, s5
	s_cselect_b32 s0, s0, s4
	s_wait_alu 0xfffe
	v_mov_b32_e32 v8, s1
	s_and_b64 s[4:5], s[0:1], s[8:9]
	v_mov_b32_e32 v7, s0
	s_wait_alu 0xfffe
	s_mul_u64 s[4:5], s[4:5], 24
	s_wait_loadcnt 0x0
	s_wait_alu 0xfffe
	v_add_co_u32 v4, vcc_lo, v2, s4
	s_wait_alu 0xfffd
	v_add_co_ci_u32_e64 v5, null, s5, v3, vcc_lo
	global_store_b64 v[4:5], v[9:10], off
	global_wb scope:SCOPE_SYS
	s_wait_storecnt 0x0
	global_atomic_cmpswap_b64 v[2:3], v6, v[7:10], s[2:3] offset:24 th:TH_ATOMIC_RETURN scope:SCOPE_SYS
	s_wait_loadcnt 0x0
	v_cmp_ne_u64_e32 vcc_lo, v[2:3], v[9:10]
	s_and_b32 exec_lo, exec_lo, vcc_lo
	s_cbranch_execz .LBB2_26
; %bb.24:
	s_mov_b32 s4, 0
.LBB2_25:                               ; =>This Inner Loop Header: Depth=1
	v_dual_mov_b32 v0, s0 :: v_dual_mov_b32 v1, s1
	s_sleep 1
	global_store_b64 v[4:5], v[2:3], off
	global_wb scope:SCOPE_SYS
	s_wait_storecnt 0x0
	global_atomic_cmpswap_b64 v[0:1], v6, v[0:3], s[2:3] offset:24 th:TH_ATOMIC_RETURN scope:SCOPE_SYS
	s_wait_loadcnt 0x0
	v_cmp_eq_u64_e32 vcc_lo, v[0:1], v[2:3]
	v_dual_mov_b32 v3, v1 :: v_dual_mov_b32 v2, v0
	s_wait_alu 0xfffe
	s_or_b32 s4, vcc_lo, s4
	s_wait_alu 0xfffe
	s_and_not1_b32 exec_lo, exec_lo, s4
	s_cbranch_execnz .LBB2_25
.LBB2_26:
	s_wait_alu 0xfffe
	s_or_b32 exec_lo, exec_lo, s6
	s_wait_loadcnt 0x0
	s_wait_kmcnt 0x0
	s_setpc_b64 s[30:31]
.Lfunc_end2:
	.size	__ockl_printf_append_args, .Lfunc_end2-__ockl_printf_append_args
                                        ; -- End function
	.set .L__ockl_printf_append_args.num_vgpr, 18
	.set .L__ockl_printf_append_args.num_agpr, 0
	.set .L__ockl_printf_append_args.numbered_sgpr, 32
	.set .L__ockl_printf_append_args.num_named_barrier, 0
	.set .L__ockl_printf_append_args.private_seg_size, 0
	.set .L__ockl_printf_append_args.uses_vcc, 1
	.set .L__ockl_printf_append_args.uses_flat_scratch, 0
	.set .L__ockl_printf_append_args.has_dyn_sized_stack, 0
	.set .L__ockl_printf_append_args.has_recursion, 0
	.set .L__ockl_printf_append_args.has_indirect_call, 0
	.section	.AMDGPU.csdata,"",@progbits
; Function info:
; codeLenInByte = 1696
; TotalNumSgprs: 34
; NumVgprs: 18
; ScratchSize: 0
; MemoryBound: 0
	.text
	.p2align	2                               ; -- Begin function _ZL14no_device_codePKciS0_iS0_
	.type	_ZL14no_device_codePKciS0_iS0_,@function
_ZL14no_device_codePKciS0_iS0_:         ; @_ZL14no_device_codePKciS0_iS0_
; %bb.0:
	s_wait_loadcnt_dscnt 0x0
	s_wait_expcnt 0x0
	s_wait_samplecnt 0x0
	s_wait_bvhcnt 0x0
	s_wait_kmcnt 0x0
	s_mov_b32 s20, s33
	s_mov_b32 s33, s32
	s_xor_saveexec_b32 s0, -1
	scratch_store_b32 off, v39, s33         ; 4-byte Folded Spill
	s_wait_alu 0xfffe
	s_mov_b32 exec_lo, s0
	v_writelane_b32 v39, s30, 0
	s_add_co_i32 s32, s32, 16
	v_writelane_b32 v39, s31, 1
	s_load_b64 s[2:3], s[8:9], 0x50
	v_mbcnt_lo_u32_b32 v31, -1, 0
	v_mov_b32_e32 v6, 0
	v_mov_b32_e32 v7, 0
	s_delay_alu instid0(VALU_DEP_3) | instskip(SKIP_1) | instid1(VALU_DEP_1)
	v_readfirstlane_b32 s0, v31
	s_wait_alu 0xf1ff
	v_cmp_eq_u32_e64 s0, s0, v31
	s_and_saveexec_b32 s1, s0
	s_cbranch_execz .LBB3_6
; %bb.1:
	v_mov_b32_e32 v0, 0
	s_mov_b32 s4, exec_lo
	s_wait_kmcnt 0x0
	global_load_b64 v[3:4], v0, s[2:3] offset:24 scope:SCOPE_SYS
	s_wait_loadcnt 0x0
	global_inv scope:SCOPE_SYS
	s_clause 0x1
	global_load_b64 v[1:2], v0, s[2:3] offset:40
	global_load_b64 v[5:6], v0, s[2:3]
	s_wait_loadcnt 0x1
	v_and_b32_e32 v2, v2, v4
	v_and_b32_e32 v1, v1, v3
	s_delay_alu instid0(VALU_DEP_2) | instskip(NEXT) | instid1(VALU_DEP_2)
	v_mul_lo_u32 v2, 24, v2
	v_mul_lo_u32 v7, 0, v1
	v_mul_hi_u32 v8, 24, v1
	v_mul_lo_u32 v1, 24, v1
	s_delay_alu instid0(VALU_DEP_3) | instskip(SKIP_1) | instid1(VALU_DEP_2)
	v_add_nc_u32_e32 v2, v2, v7
	s_wait_loadcnt 0x0
	v_add_co_u32 v1, vcc_lo, v5, v1
	s_delay_alu instid0(VALU_DEP_2) | instskip(SKIP_1) | instid1(VALU_DEP_1)
	v_add_nc_u32_e32 v2, v2, v8
	s_wait_alu 0xfffd
	v_add_co_ci_u32_e64 v2, null, v6, v2, vcc_lo
	global_load_b64 v[1:2], v[1:2], off scope:SCOPE_SYS
	s_wait_loadcnt 0x0
	global_atomic_cmpswap_b64 v[6:7], v0, v[1:4], s[2:3] offset:24 th:TH_ATOMIC_RETURN scope:SCOPE_SYS
	s_wait_loadcnt 0x0
	global_inv scope:SCOPE_SYS
	v_cmpx_ne_u64_e64 v[6:7], v[3:4]
	s_cbranch_execz .LBB3_5
; %bb.2:
	s_mov_b32 s5, 0
.LBB3_3:                                ; =>This Inner Loop Header: Depth=1
	s_sleep 1
	s_clause 0x1
	global_load_b64 v[1:2], v0, s[2:3] offset:40
	global_load_b64 v[8:9], v0, s[2:3]
	v_dual_mov_b32 v3, v6 :: v_dual_mov_b32 v4, v7
	s_wait_loadcnt 0x1
	s_delay_alu instid0(VALU_DEP_1) | instskip(NEXT) | instid1(VALU_DEP_2)
	v_and_b32_e32 v1, v1, v3
	v_and_b32_e32 v2, v2, v4
	s_wait_loadcnt 0x0
	s_delay_alu instid0(VALU_DEP_2) | instskip(NEXT) | instid1(VALU_DEP_1)
	v_mad_co_u64_u32 v[5:6], null, v1, 24, v[8:9]
	v_mov_b32_e32 v1, v6
	s_delay_alu instid0(VALU_DEP_1) | instskip(NEXT) | instid1(VALU_DEP_1)
	v_mad_co_u64_u32 v[1:2], null, v2, 24, v[1:2]
	v_mov_b32_e32 v6, v1
	global_load_b64 v[1:2], v[5:6], off scope:SCOPE_SYS
	s_wait_loadcnt 0x0
	global_atomic_cmpswap_b64 v[6:7], v0, v[1:4], s[2:3] offset:24 th:TH_ATOMIC_RETURN scope:SCOPE_SYS
	s_wait_loadcnt 0x0
	global_inv scope:SCOPE_SYS
	v_cmp_eq_u64_e32 vcc_lo, v[6:7], v[3:4]
	s_wait_alu 0xfffe
	s_or_b32 s5, vcc_lo, s5
	s_wait_alu 0xfffe
	s_and_not1_b32 exec_lo, exec_lo, s5
	s_cbranch_execnz .LBB3_3
; %bb.4:
	s_or_b32 exec_lo, exec_lo, s5
.LBB3_5:
	s_wait_alu 0xfffe
	s_or_b32 exec_lo, exec_lo, s4
.LBB3_6:
	s_wait_alu 0xfffe
	s_or_b32 exec_lo, exec_lo, s1
	v_readfirstlane_b32 s4, v6
	v_mov_b32_e32 v5, 0
	v_readfirstlane_b32 s5, v7
	s_mov_b32 s1, exec_lo
	s_wait_kmcnt 0x0
	s_clause 0x1
	global_load_b64 v[8:9], v5, s[2:3] offset:40
	global_load_b128 v[0:3], v5, s[2:3]
	s_wait_loadcnt 0x1
	s_wait_alu 0xf1ff
	v_and_b32_e32 v11, s5, v9
	v_and_b32_e32 v10, s4, v8
	s_delay_alu instid0(VALU_DEP_2) | instskip(NEXT) | instid1(VALU_DEP_2)
	v_mul_lo_u32 v4, 24, v11
	v_mul_lo_u32 v6, 0, v10
	v_mul_hi_u32 v7, 24, v10
	v_mul_lo_u32 v8, 24, v10
	s_delay_alu instid0(VALU_DEP_3) | instskip(SKIP_1) | instid1(VALU_DEP_2)
	v_add_nc_u32_e32 v4, v4, v6
	s_wait_loadcnt 0x0
	v_add_co_u32 v8, vcc_lo, v0, v8
	s_delay_alu instid0(VALU_DEP_2) | instskip(SKIP_1) | instid1(VALU_DEP_1)
	v_add_nc_u32_e32 v4, v4, v7
	s_wait_alu 0xfffd
	v_add_co_ci_u32_e64 v9, null, v1, v4, vcc_lo
	s_and_saveexec_b32 s6, s0
	s_cbranch_execz .LBB3_8
; %bb.7:
	s_wait_alu 0xfffe
	v_dual_mov_b32 v4, s1 :: v_dual_mov_b32 v7, 1
	v_mov_b32_e32 v6, 2
	global_store_b128 v[8:9], v[4:7], off offset:8
.LBB3_8:
	s_wait_alu 0xfffe
	s_or_b32 exec_lo, exec_lo, s6
	v_lshlrev_b64_e32 v[10:11], 12, v[10:11]
	v_dual_mov_b32 v7, v5 :: v_dual_lshlrev_b32 v30, 6, v31
	s_mov_b32 s12, 0
	s_wait_alu 0xfffe
	s_mov_b32 s13, s12
	s_delay_alu instid0(VALU_DEP_2)
	v_add_co_u32 v2, vcc_lo, v2, v10
	s_wait_alu 0xfffd
	v_add_co_ci_u32_e64 v3, null, v3, v11, vcc_lo
	s_mov_b32 s14, s12
	v_add_co_u32 v10, vcc_lo, v2, v30
	s_mov_b32 s15, s12
	v_mov_b32_e32 v4, 33
	v_mov_b32_e32 v6, v5
	v_readfirstlane_b32 s6, v2
	v_readfirstlane_b32 s7, v3
	v_mov_b32_e32 v12, s12
	s_wait_alu 0xfffd
	v_add_co_ci_u32_e64 v11, null, 0, v3, vcc_lo
	s_wait_alu 0xfffe
	v_dual_mov_b32 v13, s13 :: v_dual_mov_b32 v14, s14
	v_mov_b32_e32 v15, s15
	s_clause 0x3
	global_store_b128 v30, v[4:7], s[6:7]
	global_store_b128 v30, v[12:15], s[6:7] offset:16
	global_store_b128 v30, v[12:15], s[6:7] offset:32
	;; [unrolled: 1-line block ×3, first 2 shown]
	s_and_saveexec_b32 s1, s0
	s_cbranch_execz .LBB3_16
; %bb.9:
	v_mov_b32_e32 v6, 0
	s_mov_b32 s6, exec_lo
	s_clause 0x1
	global_load_b64 v[14:15], v6, s[2:3] offset:32 scope:SCOPE_SYS
	global_load_b64 v[2:3], v6, s[2:3] offset:40
	v_dual_mov_b32 v13, s5 :: v_dual_mov_b32 v12, s4
	s_wait_loadcnt 0x0
	v_and_b32_e32 v3, s5, v3
	v_and_b32_e32 v2, s4, v2
	s_delay_alu instid0(VALU_DEP_2) | instskip(NEXT) | instid1(VALU_DEP_2)
	v_mul_lo_u32 v3, 24, v3
	v_mul_lo_u32 v4, 0, v2
	v_mul_hi_u32 v5, 24, v2
	v_mul_lo_u32 v2, 24, v2
	s_delay_alu instid0(VALU_DEP_3) | instskip(NEXT) | instid1(VALU_DEP_2)
	v_add_nc_u32_e32 v3, v3, v4
	v_add_co_u32 v4, vcc_lo, v0, v2
	s_delay_alu instid0(VALU_DEP_2) | instskip(SKIP_1) | instid1(VALU_DEP_1)
	v_add_nc_u32_e32 v3, v3, v5
	s_wait_alu 0xfffd
	v_add_co_ci_u32_e64 v5, null, v1, v3, vcc_lo
	global_store_b64 v[4:5], v[14:15], off
	global_wb scope:SCOPE_SYS
	s_wait_storecnt 0x0
	global_atomic_cmpswap_b64 v[2:3], v6, v[12:15], s[2:3] offset:32 th:TH_ATOMIC_RETURN scope:SCOPE_SYS
	s_wait_loadcnt 0x0
	v_cmpx_ne_u64_e64 v[2:3], v[14:15]
	s_cbranch_execz .LBB3_12
; %bb.10:
	s_mov_b32 s7, 0
.LBB3_11:                               ; =>This Inner Loop Header: Depth=1
	v_dual_mov_b32 v0, s4 :: v_dual_mov_b32 v1, s5
	s_sleep 1
	global_store_b64 v[4:5], v[2:3], off
	global_wb scope:SCOPE_SYS
	s_wait_storecnt 0x0
	global_atomic_cmpswap_b64 v[0:1], v6, v[0:3], s[2:3] offset:32 th:TH_ATOMIC_RETURN scope:SCOPE_SYS
	s_wait_loadcnt 0x0
	v_cmp_eq_u64_e32 vcc_lo, v[0:1], v[2:3]
	v_dual_mov_b32 v3, v1 :: v_dual_mov_b32 v2, v0
	s_wait_alu 0xfffe
	s_or_b32 s7, vcc_lo, s7
	s_wait_alu 0xfffe
	s_and_not1_b32 exec_lo, exec_lo, s7
	s_cbranch_execnz .LBB3_11
.LBB3_12:
	s_wait_alu 0xfffe
	s_or_b32 exec_lo, exec_lo, s6
	v_mov_b32_e32 v3, 0
	s_mov_b32 s7, exec_lo
	s_mov_b32 s6, exec_lo
	s_wait_alu 0xfffe
	v_mbcnt_lo_u32_b32 v2, s7, 0
	global_load_b64 v[0:1], v3, s[2:3] offset:16
	v_cmpx_eq_u32_e32 0, v2
	s_cbranch_execz .LBB3_14
; %bb.13:
	s_bcnt1_i32_b32 s7, s7
	s_wait_alu 0xfffe
	v_mov_b32_e32 v2, s7
	global_wb scope:SCOPE_SYS
	s_wait_loadcnt 0x0
	s_wait_storecnt 0x0
	global_atomic_add_u64 v[0:1], v[2:3], off offset:8 scope:SCOPE_SYS
.LBB3_14:
	s_or_b32 exec_lo, exec_lo, s6
	s_wait_loadcnt 0x0
	global_load_b64 v[2:3], v[0:1], off offset:16
	s_wait_loadcnt 0x0
	v_cmp_eq_u64_e32 vcc_lo, 0, v[2:3]
	s_cbranch_vccnz .LBB3_16
; %bb.15:
	global_load_b32 v0, v[0:1], off offset:24
	v_mov_b32_e32 v1, 0
	s_wait_loadcnt 0x0
	v_readfirstlane_b32 s6, v0
	global_wb scope:SCOPE_SYS
	s_wait_storecnt 0x0
	global_store_b64 v[2:3], v[0:1], off scope:SCOPE_SYS
	s_and_b32 m0, s6, 0xffffff
	s_sendmsg sendmsg(MSG_INTERRUPT)
.LBB3_16:
	s_wait_alu 0xfffe
	s_or_b32 exec_lo, exec_lo, s1
	s_branch .LBB3_20
.LBB3_17:                               ;   in Loop: Header=BB3_20 Depth=1
	s_wait_alu 0xfffe
	s_or_b32 exec_lo, exec_lo, s1
	s_delay_alu instid0(VALU_DEP_1)
	v_readfirstlane_b32 s1, v0
	s_cmp_eq_u32 s1, 0
	s_cbranch_scc1 .LBB3_19
; %bb.18:                               ;   in Loop: Header=BB3_20 Depth=1
	s_sleep 1
	s_cbranch_execnz .LBB3_20
	s_branch .LBB3_22
.LBB3_19:
	s_branch .LBB3_22
.LBB3_20:                               ; =>This Inner Loop Header: Depth=1
	v_mov_b32_e32 v0, 1
	s_and_saveexec_b32 s1, s0
	s_cbranch_execz .LBB3_17
; %bb.21:                               ;   in Loop: Header=BB3_20 Depth=1
	global_load_b32 v0, v[8:9], off offset:20 scope:SCOPE_SYS
	s_wait_loadcnt 0x0
	global_inv scope:SCOPE_SYS
	v_and_b32_e32 v0, 1, v0
	s_branch .LBB3_17
.LBB3_22:
	global_load_b64 v[4:5], v[10:11], off
	s_and_saveexec_b32 s6, s0
	s_cbranch_execz .LBB3_26
; %bb.23:
	v_mov_b32_e32 v8, 0
	s_clause 0x2
	global_load_b64 v[0:1], v8, s[2:3] offset:40
	global_load_b64 v[11:12], v8, s[2:3] offset:24 scope:SCOPE_SYS
	global_load_b64 v[2:3], v8, s[2:3]
	s_wait_loadcnt 0x2
	v_readfirstlane_b32 s10, v0
	v_readfirstlane_b32 s11, v1
	s_add_nc_u64 s[0:1], s[10:11], 1
	s_wait_alu 0xfffe
	s_add_nc_u64 s[4:5], s[0:1], s[4:5]
	s_wait_alu 0xfffe
	s_cmp_eq_u64 s[4:5], 0
	s_cselect_b32 s1, s1, s5
	s_cselect_b32 s0, s0, s4
	s_wait_alu 0xfffe
	v_mov_b32_e32 v10, s1
	s_and_b64 s[4:5], s[0:1], s[10:11]
	v_mov_b32_e32 v9, s0
	s_wait_alu 0xfffe
	s_mul_u64 s[4:5], s[4:5], 24
	s_wait_loadcnt 0x0
	s_wait_alu 0xfffe
	v_add_co_u32 v6, vcc_lo, v2, s4
	s_wait_alu 0xfffd
	v_add_co_ci_u32_e64 v7, null, s5, v3, vcc_lo
	global_store_b64 v[6:7], v[11:12], off
	global_wb scope:SCOPE_SYS
	s_wait_storecnt 0x0
	global_atomic_cmpswap_b64 v[2:3], v8, v[9:12], s[2:3] offset:24 th:TH_ATOMIC_RETURN scope:SCOPE_SYS
	s_wait_loadcnt 0x0
	v_cmp_ne_u64_e32 vcc_lo, v[2:3], v[11:12]
	s_and_b32 exec_lo, exec_lo, vcc_lo
	s_cbranch_execz .LBB3_26
; %bb.24:
	s_mov_b32 s4, 0
.LBB3_25:                               ; =>This Inner Loop Header: Depth=1
	v_dual_mov_b32 v0, s0 :: v_dual_mov_b32 v1, s1
	s_sleep 1
	global_store_b64 v[6:7], v[2:3], off
	global_wb scope:SCOPE_SYS
	s_wait_storecnt 0x0
	global_atomic_cmpswap_b64 v[0:1], v8, v[0:3], s[2:3] offset:24 th:TH_ATOMIC_RETURN scope:SCOPE_SYS
	s_wait_loadcnt 0x0
	v_cmp_eq_u64_e32 vcc_lo, v[0:1], v[2:3]
	v_dual_mov_b32 v3, v1 :: v_dual_mov_b32 v2, v0
	s_wait_alu 0xfffe
	s_or_b32 s4, vcc_lo, s4
	s_wait_alu 0xfffe
	s_and_not1_b32 exec_lo, exec_lo, s4
	s_cbranch_execnz .LBB3_25
.LBB3_26:
	s_wait_alu 0xfffe
	s_or_b32 exec_lo, exec_lo, s6
	s_getpc_b64 s[4:5]
	s_wait_alu 0xfffe
	s_sext_i32_i16 s5, s5
	s_add_co_u32 s4, s4, .str.2@rel32@lo+12
	s_wait_alu 0xfffe
	s_add_co_ci_u32 s5, s5, .str.2@rel32@hi+24
	s_wait_alu 0xfffe
	s_cmp_lg_u64 s[4:5], 0
	s_cbranch_scc0 .LBB3_104
; %bb.27:
	s_wait_loadcnt 0x0
	v_dual_mov_b32 v7, 0 :: v_dual_and_b32 v32, 2, v4
	v_dual_mov_b32 v1, v5 :: v_dual_and_b32 v0, -3, v4
	v_dual_mov_b32 v8, 2 :: v_dual_mov_b32 v9, 1
	s_mov_b64 s[6:7], 0x4d
	s_branch .LBB3_29
.LBB3_28:                               ;   in Loop: Header=BB3_29 Depth=1
	s_wait_alu 0xfffe
	s_or_b32 exec_lo, exec_lo, s14
	s_sub_nc_u64 s[6:7], s[6:7], s[10:11]
	s_add_nc_u64 s[4:5], s[4:5], s[10:11]
	s_wait_alu 0xfffe
	s_cmp_lg_u64 s[6:7], 0
	s_cbranch_scc0 .LBB3_105
.LBB3_29:                               ; =>This Loop Header: Depth=1
                                        ;     Child Loop BB3_32 Depth 2
                                        ;     Child Loop BB3_39 Depth 2
	;; [unrolled: 1-line block ×11, first 2 shown]
	s_wait_alu 0xfffe
	v_cmp_lt_u64_e64 s0, s[6:7], 56
	v_cmp_gt_u64_e64 s1, s[6:7], 7
	s_and_b32 s0, s0, exec_lo
	s_cselect_b32 s11, s7, 0
	s_cselect_b32 s10, s6, 56
	s_and_b32 vcc_lo, exec_lo, s1
	s_wait_alu 0xfffe
	s_cbranch_vccnz .LBB3_34
; %bb.30:                               ;   in Loop: Header=BB3_29 Depth=1
	v_mov_b32_e32 v2, 0
	v_mov_b32_e32 v3, 0
	s_cmp_eq_u64 s[6:7], 0
	s_cbranch_scc1 .LBB3_33
; %bb.31:                               ;   in Loop: Header=BB3_29 Depth=1
	s_mov_b64 s[0:1], 0
	s_mov_b64 s[12:13], 0
.LBB3_32:                               ;   Parent Loop BB3_29 Depth=1
                                        ; =>  This Inner Loop Header: Depth=2
	s_wait_alu 0xfffe
	s_add_nc_u64 s[14:15], s[4:5], s[12:13]
	s_add_nc_u64 s[12:13], s[12:13], 1
	global_load_u8 v6, v7, s[14:15]
	s_wait_alu 0xfffe
	s_cmp_lg_u32 s10, s12
	s_wait_loadcnt 0x0
	v_and_b32_e32 v6, 0xffff, v6
	s_delay_alu instid0(VALU_DEP_1) | instskip(SKIP_1) | instid1(VALU_DEP_1)
	v_lshlrev_b64_e32 v[10:11], s0, v[6:7]
	s_add_nc_u64 s[0:1], s[0:1], 8
	v_or_b32_e32 v2, v10, v2
	s_delay_alu instid0(VALU_DEP_2)
	v_or_b32_e32 v3, v11, v3
	s_cbranch_scc1 .LBB3_32
.LBB3_33:                               ;   in Loop: Header=BB3_29 Depth=1
	s_mov_b64 s[12:13], s[4:5]
	s_mov_b32 s16, 0
	s_cbranch_execz .LBB3_35
	s_branch .LBB3_36
.LBB3_34:                               ;   in Loop: Header=BB3_29 Depth=1
	s_add_nc_u64 s[12:13], s[4:5], 8
	s_mov_b32 s16, 0
.LBB3_35:                               ;   in Loop: Header=BB3_29 Depth=1
	global_load_b64 v[2:3], v7, s[4:5]
	s_add_co_i32 s16, s10, -8
.LBB3_36:                               ;   in Loop: Header=BB3_29 Depth=1
	s_wait_alu 0xfffe
	s_cmp_gt_u32 s16, 7
	s_cbranch_scc1 .LBB3_41
; %bb.37:                               ;   in Loop: Header=BB3_29 Depth=1
	v_mov_b32_e32 v10, 0
	v_mov_b32_e32 v11, 0
	s_cmp_eq_u32 s16, 0
	s_cbranch_scc1 .LBB3_40
; %bb.38:                               ;   in Loop: Header=BB3_29 Depth=1
	s_mov_b64 s[0:1], 0
	s_mov_b64 s[14:15], 0
.LBB3_39:                               ;   Parent Loop BB3_29 Depth=1
                                        ; =>  This Inner Loop Header: Depth=2
	s_wait_alu 0xfffe
	s_add_nc_u64 s[18:19], s[12:13], s[14:15]
	s_add_nc_u64 s[14:15], s[14:15], 1
	global_load_u8 v6, v7, s[18:19]
	s_wait_alu 0xfffe
	s_cmp_lg_u32 s16, s14
	s_wait_loadcnt 0x0
	v_and_b32_e32 v6, 0xffff, v6
	s_delay_alu instid0(VALU_DEP_1) | instskip(SKIP_1) | instid1(VALU_DEP_1)
	v_lshlrev_b64_e32 v[12:13], s0, v[6:7]
	s_add_nc_u64 s[0:1], s[0:1], 8
	v_or_b32_e32 v10, v12, v10
	s_delay_alu instid0(VALU_DEP_2)
	v_or_b32_e32 v11, v13, v11
	s_cbranch_scc1 .LBB3_39
.LBB3_40:                               ;   in Loop: Header=BB3_29 Depth=1
	s_mov_b64 s[0:1], s[12:13]
	s_mov_b32 s17, 0
	s_cbranch_execz .LBB3_42
	s_branch .LBB3_43
.LBB3_41:                               ;   in Loop: Header=BB3_29 Depth=1
	s_add_nc_u64 s[0:1], s[12:13], 8
                                        ; implicit-def: $vgpr10_vgpr11
	s_mov_b32 s17, 0
.LBB3_42:                               ;   in Loop: Header=BB3_29 Depth=1
	global_load_b64 v[10:11], v7, s[12:13]
	s_add_co_i32 s17, s16, -8
.LBB3_43:                               ;   in Loop: Header=BB3_29 Depth=1
	s_wait_alu 0xfffe
	s_cmp_gt_u32 s17, 7
	s_cbranch_scc1 .LBB3_48
; %bb.44:                               ;   in Loop: Header=BB3_29 Depth=1
	v_mov_b32_e32 v12, 0
	v_mov_b32_e32 v13, 0
	s_cmp_eq_u32 s17, 0
	s_cbranch_scc1 .LBB3_47
; %bb.45:                               ;   in Loop: Header=BB3_29 Depth=1
	s_mov_b64 s[12:13], 0
	s_mov_b64 s[14:15], 0
.LBB3_46:                               ;   Parent Loop BB3_29 Depth=1
                                        ; =>  This Inner Loop Header: Depth=2
	s_wait_alu 0xfffe
	s_add_nc_u64 s[18:19], s[0:1], s[14:15]
	s_add_nc_u64 s[14:15], s[14:15], 1
	global_load_u8 v6, v7, s[18:19]
	s_wait_alu 0xfffe
	s_cmp_lg_u32 s17, s14
	s_wait_loadcnt 0x0
	v_and_b32_e32 v6, 0xffff, v6
	s_delay_alu instid0(VALU_DEP_1) | instskip(SKIP_1) | instid1(VALU_DEP_1)
	v_lshlrev_b64_e32 v[14:15], s12, v[6:7]
	s_add_nc_u64 s[12:13], s[12:13], 8
	v_or_b32_e32 v12, v14, v12
	s_delay_alu instid0(VALU_DEP_2)
	v_or_b32_e32 v13, v15, v13
	s_cbranch_scc1 .LBB3_46
.LBB3_47:                               ;   in Loop: Header=BB3_29 Depth=1
	s_mov_b64 s[12:13], s[0:1]
	s_mov_b32 s16, 0
	s_cbranch_execz .LBB3_49
	s_branch .LBB3_50
.LBB3_48:                               ;   in Loop: Header=BB3_29 Depth=1
	s_add_nc_u64 s[12:13], s[0:1], 8
	s_mov_b32 s16, 0
.LBB3_49:                               ;   in Loop: Header=BB3_29 Depth=1
	global_load_b64 v[12:13], v7, s[0:1]
	s_add_co_i32 s16, s17, -8
.LBB3_50:                               ;   in Loop: Header=BB3_29 Depth=1
	s_wait_alu 0xfffe
	s_cmp_gt_u32 s16, 7
	s_cbranch_scc1 .LBB3_55
; %bb.51:                               ;   in Loop: Header=BB3_29 Depth=1
	v_mov_b32_e32 v14, 0
	v_mov_b32_e32 v15, 0
	s_cmp_eq_u32 s16, 0
	s_cbranch_scc1 .LBB3_54
; %bb.52:                               ;   in Loop: Header=BB3_29 Depth=1
	s_mov_b64 s[0:1], 0
	s_mov_b64 s[14:15], 0
.LBB3_53:                               ;   Parent Loop BB3_29 Depth=1
                                        ; =>  This Inner Loop Header: Depth=2
	s_wait_alu 0xfffe
	s_add_nc_u64 s[18:19], s[12:13], s[14:15]
	s_add_nc_u64 s[14:15], s[14:15], 1
	global_load_u8 v6, v7, s[18:19]
	s_wait_alu 0xfffe
	s_cmp_lg_u32 s16, s14
	s_wait_loadcnt 0x0
	v_and_b32_e32 v6, 0xffff, v6
	s_delay_alu instid0(VALU_DEP_1) | instskip(SKIP_1) | instid1(VALU_DEP_1)
	v_lshlrev_b64_e32 v[16:17], s0, v[6:7]
	s_add_nc_u64 s[0:1], s[0:1], 8
	v_or_b32_e32 v14, v16, v14
	s_delay_alu instid0(VALU_DEP_2)
	v_or_b32_e32 v15, v17, v15
	s_cbranch_scc1 .LBB3_53
.LBB3_54:                               ;   in Loop: Header=BB3_29 Depth=1
	s_mov_b64 s[0:1], s[12:13]
	s_mov_b32 s17, 0
	s_cbranch_execz .LBB3_56
	s_branch .LBB3_57
.LBB3_55:                               ;   in Loop: Header=BB3_29 Depth=1
	s_add_nc_u64 s[0:1], s[12:13], 8
                                        ; implicit-def: $vgpr14_vgpr15
	s_mov_b32 s17, 0
.LBB3_56:                               ;   in Loop: Header=BB3_29 Depth=1
	global_load_b64 v[14:15], v7, s[12:13]
	s_add_co_i32 s17, s16, -8
.LBB3_57:                               ;   in Loop: Header=BB3_29 Depth=1
	s_wait_alu 0xfffe
	s_cmp_gt_u32 s17, 7
	s_cbranch_scc1 .LBB3_62
; %bb.58:                               ;   in Loop: Header=BB3_29 Depth=1
	v_mov_b32_e32 v16, 0
	v_mov_b32_e32 v17, 0
	s_cmp_eq_u32 s17, 0
	s_cbranch_scc1 .LBB3_61
; %bb.59:                               ;   in Loop: Header=BB3_29 Depth=1
	s_mov_b64 s[12:13], 0
	s_mov_b64 s[14:15], 0
.LBB3_60:                               ;   Parent Loop BB3_29 Depth=1
                                        ; =>  This Inner Loop Header: Depth=2
	s_wait_alu 0xfffe
	s_add_nc_u64 s[18:19], s[0:1], s[14:15]
	s_add_nc_u64 s[14:15], s[14:15], 1
	global_load_u8 v6, v7, s[18:19]
	s_wait_alu 0xfffe
	s_cmp_lg_u32 s17, s14
	s_wait_loadcnt 0x0
	v_and_b32_e32 v6, 0xffff, v6
	s_delay_alu instid0(VALU_DEP_1) | instskip(SKIP_1) | instid1(VALU_DEP_1)
	v_lshlrev_b64_e32 v[18:19], s12, v[6:7]
	s_add_nc_u64 s[12:13], s[12:13], 8
	v_or_b32_e32 v16, v18, v16
	s_delay_alu instid0(VALU_DEP_2)
	v_or_b32_e32 v17, v19, v17
	s_cbranch_scc1 .LBB3_60
.LBB3_61:                               ;   in Loop: Header=BB3_29 Depth=1
	s_mov_b64 s[12:13], s[0:1]
	s_mov_b32 s16, 0
	s_cbranch_execz .LBB3_63
	s_branch .LBB3_64
.LBB3_62:                               ;   in Loop: Header=BB3_29 Depth=1
	s_add_nc_u64 s[12:13], s[0:1], 8
	s_mov_b32 s16, 0
.LBB3_63:                               ;   in Loop: Header=BB3_29 Depth=1
	global_load_b64 v[16:17], v7, s[0:1]
	s_add_co_i32 s16, s17, -8
.LBB3_64:                               ;   in Loop: Header=BB3_29 Depth=1
	s_wait_alu 0xfffe
	s_cmp_gt_u32 s16, 7
	s_cbranch_scc1 .LBB3_69
; %bb.65:                               ;   in Loop: Header=BB3_29 Depth=1
	v_mov_b32_e32 v18, 0
	v_mov_b32_e32 v19, 0
	s_cmp_eq_u32 s16, 0
	s_cbranch_scc1 .LBB3_68
; %bb.66:                               ;   in Loop: Header=BB3_29 Depth=1
	s_mov_b64 s[0:1], 0
	s_mov_b64 s[14:15], 0
.LBB3_67:                               ;   Parent Loop BB3_29 Depth=1
                                        ; =>  This Inner Loop Header: Depth=2
	s_wait_alu 0xfffe
	s_add_nc_u64 s[18:19], s[12:13], s[14:15]
	s_add_nc_u64 s[14:15], s[14:15], 1
	global_load_u8 v6, v7, s[18:19]
	s_wait_alu 0xfffe
	s_cmp_lg_u32 s16, s14
	s_wait_loadcnt 0x0
	v_and_b32_e32 v6, 0xffff, v6
	s_delay_alu instid0(VALU_DEP_1) | instskip(SKIP_1) | instid1(VALU_DEP_1)
	v_lshlrev_b64_e32 v[20:21], s0, v[6:7]
	s_add_nc_u64 s[0:1], s[0:1], 8
	v_or_b32_e32 v18, v20, v18
	s_delay_alu instid0(VALU_DEP_2)
	v_or_b32_e32 v19, v21, v19
	s_cbranch_scc1 .LBB3_67
.LBB3_68:                               ;   in Loop: Header=BB3_29 Depth=1
	s_mov_b64 s[0:1], s[12:13]
	s_mov_b32 s17, 0
	s_cbranch_execz .LBB3_70
	s_branch .LBB3_71
.LBB3_69:                               ;   in Loop: Header=BB3_29 Depth=1
	s_add_nc_u64 s[0:1], s[12:13], 8
                                        ; implicit-def: $vgpr18_vgpr19
	s_mov_b32 s17, 0
.LBB3_70:                               ;   in Loop: Header=BB3_29 Depth=1
	global_load_b64 v[18:19], v7, s[12:13]
	s_add_co_i32 s17, s16, -8
.LBB3_71:                               ;   in Loop: Header=BB3_29 Depth=1
	s_wait_alu 0xfffe
	s_cmp_gt_u32 s17, 7
	s_cbranch_scc1 .LBB3_76
; %bb.72:                               ;   in Loop: Header=BB3_29 Depth=1
	v_mov_b32_e32 v20, 0
	v_mov_b32_e32 v21, 0
	s_cmp_eq_u32 s17, 0
	s_cbranch_scc1 .LBB3_75
; %bb.73:                               ;   in Loop: Header=BB3_29 Depth=1
	s_mov_b64 s[12:13], 0
	s_mov_b64 s[14:15], s[0:1]
.LBB3_74:                               ;   Parent Loop BB3_29 Depth=1
                                        ; =>  This Inner Loop Header: Depth=2
	global_load_u8 v6, v7, s[14:15]
	s_add_co_i32 s17, s17, -1
	s_wait_alu 0xfffe
	s_add_nc_u64 s[14:15], s[14:15], 1
	s_cmp_lg_u32 s17, 0
	s_wait_loadcnt 0x0
	v_and_b32_e32 v6, 0xffff, v6
	s_delay_alu instid0(VALU_DEP_1) | instskip(SKIP_1) | instid1(VALU_DEP_1)
	v_lshlrev_b64_e32 v[22:23], s12, v[6:7]
	s_add_nc_u64 s[12:13], s[12:13], 8
	v_or_b32_e32 v20, v22, v20
	s_delay_alu instid0(VALU_DEP_2)
	v_or_b32_e32 v21, v23, v21
	s_cbranch_scc1 .LBB3_74
.LBB3_75:                               ;   in Loop: Header=BB3_29 Depth=1
	s_cbranch_execz .LBB3_77
	s_branch .LBB3_78
.LBB3_76:                               ;   in Loop: Header=BB3_29 Depth=1
.LBB3_77:                               ;   in Loop: Header=BB3_29 Depth=1
	global_load_b64 v[20:21], v7, s[0:1]
.LBB3_78:                               ;   in Loop: Header=BB3_29 Depth=1
	v_readfirstlane_b32 s0, v31
	v_mov_b32_e32 v26, 0
	v_mov_b32_e32 v27, 0
	s_wait_alu 0xf1ff
	s_delay_alu instid0(VALU_DEP_3)
	v_cmp_eq_u32_e64 s0, s0, v31
	s_and_saveexec_b32 s1, s0
	s_cbranch_execz .LBB3_84
; %bb.79:                               ;   in Loop: Header=BB3_29 Depth=1
	global_load_b64 v[24:25], v7, s[2:3] offset:24 scope:SCOPE_SYS
	s_wait_loadcnt 0x0
	global_inv scope:SCOPE_SYS
	s_clause 0x1
	global_load_b64 v[22:23], v7, s[2:3] offset:40
	global_load_b64 v[26:27], v7, s[2:3]
	s_mov_b32 s12, exec_lo
	s_wait_loadcnt 0x1
	v_and_b32_e32 v6, v23, v25
	v_and_b32_e32 v22, v22, v24
	s_delay_alu instid0(VALU_DEP_2) | instskip(NEXT) | instid1(VALU_DEP_2)
	v_mul_lo_u32 v6, 24, v6
	v_mul_lo_u32 v23, 0, v22
	v_mul_hi_u32 v28, 24, v22
	v_mul_lo_u32 v22, 24, v22
	s_delay_alu instid0(VALU_DEP_3) | instskip(SKIP_1) | instid1(VALU_DEP_2)
	v_add_nc_u32_e32 v6, v6, v23
	s_wait_loadcnt 0x0
	v_add_co_u32 v22, vcc_lo, v26, v22
	s_delay_alu instid0(VALU_DEP_2) | instskip(SKIP_1) | instid1(VALU_DEP_1)
	v_add_nc_u32_e32 v6, v6, v28
	s_wait_alu 0xfffd
	v_add_co_ci_u32_e64 v23, null, v27, v6, vcc_lo
	global_load_b64 v[22:23], v[22:23], off scope:SCOPE_SYS
	s_wait_loadcnt 0x0
	global_atomic_cmpswap_b64 v[26:27], v7, v[22:25], s[2:3] offset:24 th:TH_ATOMIC_RETURN scope:SCOPE_SYS
	s_wait_loadcnt 0x0
	global_inv scope:SCOPE_SYS
	v_cmpx_ne_u64_e64 v[26:27], v[24:25]
	s_cbranch_execz .LBB3_83
; %bb.80:                               ;   in Loop: Header=BB3_29 Depth=1
	s_mov_b32 s13, 0
.LBB3_81:                               ;   Parent Loop BB3_29 Depth=1
                                        ; =>  This Inner Loop Header: Depth=2
	s_sleep 1
	s_clause 0x1
	global_load_b64 v[22:23], v7, s[2:3] offset:40
	global_load_b64 v[28:29], v7, s[2:3]
	v_dual_mov_b32 v24, v26 :: v_dual_mov_b32 v25, v27
	s_wait_loadcnt 0x1
	s_delay_alu instid0(VALU_DEP_1) | instskip(NEXT) | instid1(VALU_DEP_2)
	v_and_b32_e32 v6, v22, v24
	v_and_b32_e32 v22, v23, v25
	s_wait_loadcnt 0x0
	s_delay_alu instid0(VALU_DEP_2) | instskip(NEXT) | instid1(VALU_DEP_1)
	v_mad_co_u64_u32 v[26:27], null, v6, 24, v[28:29]
	v_mov_b32_e32 v6, v27
	s_delay_alu instid0(VALU_DEP_1) | instskip(NEXT) | instid1(VALU_DEP_1)
	v_mad_co_u64_u32 v[22:23], null, v22, 24, v[6:7]
	v_mov_b32_e32 v27, v22
	global_load_b64 v[22:23], v[26:27], off scope:SCOPE_SYS
	s_wait_loadcnt 0x0
	global_atomic_cmpswap_b64 v[26:27], v7, v[22:25], s[2:3] offset:24 th:TH_ATOMIC_RETURN scope:SCOPE_SYS
	s_wait_loadcnt 0x0
	global_inv scope:SCOPE_SYS
	v_cmp_eq_u64_e32 vcc_lo, v[26:27], v[24:25]
	s_wait_alu 0xfffe
	s_or_b32 s13, vcc_lo, s13
	s_wait_alu 0xfffe
	s_and_not1_b32 exec_lo, exec_lo, s13
	s_cbranch_execnz .LBB3_81
; %bb.82:                               ;   in Loop: Header=BB3_29 Depth=1
	s_or_b32 exec_lo, exec_lo, s13
.LBB3_83:                               ;   in Loop: Header=BB3_29 Depth=1
	s_wait_alu 0xfffe
	s_or_b32 exec_lo, exec_lo, s12
.LBB3_84:                               ;   in Loop: Header=BB3_29 Depth=1
	s_wait_alu 0xfffe
	s_or_b32 exec_lo, exec_lo, s1
	s_clause 0x1
	global_load_b64 v[28:29], v7, s[2:3] offset:40
	global_load_b128 v[22:25], v7, s[2:3]
	v_readfirstlane_b32 s13, v27
	v_readfirstlane_b32 s12, v26
	s_mov_b32 s1, exec_lo
	s_wait_loadcnt 0x1
	s_wait_alu 0xf1ff
	v_and_b32_e32 v29, s13, v29
	v_and_b32_e32 v28, s12, v28
	s_delay_alu instid0(VALU_DEP_2) | instskip(NEXT) | instid1(VALU_DEP_2)
	v_mul_lo_u32 v6, 24, v29
	v_mul_lo_u32 v26, 0, v28
	v_mul_hi_u32 v27, 24, v28
	v_mul_lo_u32 v33, 24, v28
	s_delay_alu instid0(VALU_DEP_3) | instskip(SKIP_1) | instid1(VALU_DEP_2)
	v_add_nc_u32_e32 v6, v6, v26
	s_wait_loadcnt 0x0
	v_add_co_u32 v26, vcc_lo, v22, v33
	s_delay_alu instid0(VALU_DEP_2) | instskip(SKIP_1) | instid1(VALU_DEP_1)
	v_add_nc_u32_e32 v6, v6, v27
	s_wait_alu 0xfffd
	v_add_co_ci_u32_e64 v27, null, v23, v6, vcc_lo
	s_and_saveexec_b32 s14, s0
	s_cbranch_execz .LBB3_86
; %bb.85:                               ;   in Loop: Header=BB3_29 Depth=1
	s_wait_alu 0xfffe
	v_mov_b32_e32 v6, s1
	global_store_b128 v[26:27], v[6:9], off offset:8
.LBB3_86:                               ;   in Loop: Header=BB3_29 Depth=1
	s_wait_alu 0xfffe
	s_or_b32 exec_lo, exec_lo, s14
	v_cmp_lt_u64_e64 vcc_lo, s[6:7], 57
	v_lshlrev_b64_e32 v[28:29], 12, v[28:29]
	v_and_b32_e32 v0, 0xffffff1f, v0
	s_lshl_b32 s1, s10, 2
	s_wait_alu 0xfffe
	s_add_co_i32 s1, s1, 28
	s_wait_alu 0xfffd
	v_cndmask_b32_e32 v6, 0, v32, vcc_lo
	v_add_co_u32 v24, vcc_lo, v24, v28
	s_wait_alu 0xfffd
	v_add_co_ci_u32_e64 v25, null, v25, v29, vcc_lo
	s_delay_alu instid0(VALU_DEP_3) | instskip(NEXT) | instid1(VALU_DEP_3)
	v_or_b32_e32 v0, v0, v6
	v_readfirstlane_b32 s14, v24
	s_delay_alu instid0(VALU_DEP_3) | instskip(SKIP_1) | instid1(VALU_DEP_3)
	v_readfirstlane_b32 s15, v25
	s_wait_alu 0xfffe
	v_and_or_b32 v0, 0x1e0, s1, v0
	s_clause 0x3
	global_store_b128 v30, v[0:3], s[14:15]
	global_store_b128 v30, v[10:13], s[14:15] offset:16
	global_store_b128 v30, v[14:17], s[14:15] offset:32
	;; [unrolled: 1-line block ×3, first 2 shown]
	s_and_saveexec_b32 s1, s0
	s_cbranch_execz .LBB3_94
; %bb.87:                               ;   in Loop: Header=BB3_29 Depth=1
	s_clause 0x1
	global_load_b64 v[14:15], v7, s[2:3] offset:32 scope:SCOPE_SYS
	global_load_b64 v[0:1], v7, s[2:3] offset:40
	s_mov_b32 s14, exec_lo
	v_dual_mov_b32 v12, s12 :: v_dual_mov_b32 v13, s13
	s_wait_loadcnt 0x0
	v_and_b32_e32 v0, s12, v0
	v_and_b32_e32 v1, s13, v1
	s_delay_alu instid0(VALU_DEP_2) | instskip(NEXT) | instid1(VALU_DEP_2)
	v_mul_lo_u32 v2, 0, v0
	v_mul_lo_u32 v1, 24, v1
	v_mul_hi_u32 v3, 24, v0
	v_mul_lo_u32 v0, 24, v0
	s_delay_alu instid0(VALU_DEP_3) | instskip(NEXT) | instid1(VALU_DEP_2)
	v_add_nc_u32_e32 v1, v1, v2
	v_add_co_u32 v10, vcc_lo, v22, v0
	s_delay_alu instid0(VALU_DEP_2) | instskip(SKIP_1) | instid1(VALU_DEP_1)
	v_add_nc_u32_e32 v1, v1, v3
	s_wait_alu 0xfffd
	v_add_co_ci_u32_e64 v11, null, v23, v1, vcc_lo
	global_store_b64 v[10:11], v[14:15], off
	global_wb scope:SCOPE_SYS
	s_wait_storecnt 0x0
	global_atomic_cmpswap_b64 v[2:3], v7, v[12:15], s[2:3] offset:32 th:TH_ATOMIC_RETURN scope:SCOPE_SYS
	s_wait_loadcnt 0x0
	v_cmpx_ne_u64_e64 v[2:3], v[14:15]
	s_cbranch_execz .LBB3_90
; %bb.88:                               ;   in Loop: Header=BB3_29 Depth=1
	s_mov_b32 s15, 0
.LBB3_89:                               ;   Parent Loop BB3_29 Depth=1
                                        ; =>  This Inner Loop Header: Depth=2
	v_dual_mov_b32 v0, s12 :: v_dual_mov_b32 v1, s13
	s_sleep 1
	global_store_b64 v[10:11], v[2:3], off
	global_wb scope:SCOPE_SYS
	s_wait_storecnt 0x0
	global_atomic_cmpswap_b64 v[0:1], v7, v[0:3], s[2:3] offset:32 th:TH_ATOMIC_RETURN scope:SCOPE_SYS
	s_wait_loadcnt 0x0
	v_cmp_eq_u64_e32 vcc_lo, v[0:1], v[2:3]
	v_dual_mov_b32 v3, v1 :: v_dual_mov_b32 v2, v0
	s_wait_alu 0xfffe
	s_or_b32 s15, vcc_lo, s15
	s_wait_alu 0xfffe
	s_and_not1_b32 exec_lo, exec_lo, s15
	s_cbranch_execnz .LBB3_89
.LBB3_90:                               ;   in Loop: Header=BB3_29 Depth=1
	s_wait_alu 0xfffe
	s_or_b32 exec_lo, exec_lo, s14
	global_load_b64 v[0:1], v7, s[2:3] offset:16
	s_mov_b32 s15, exec_lo
	s_mov_b32 s14, exec_lo
	s_wait_alu 0xfffe
	v_mbcnt_lo_u32_b32 v2, s15, 0
	s_delay_alu instid0(VALU_DEP_1)
	v_cmpx_eq_u32_e32 0, v2
	s_cbranch_execz .LBB3_92
; %bb.91:                               ;   in Loop: Header=BB3_29 Depth=1
	s_bcnt1_i32_b32 s15, s15
	s_wait_alu 0xfffe
	v_mov_b32_e32 v6, s15
	global_wb scope:SCOPE_SYS
	s_wait_loadcnt 0x0
	s_wait_storecnt 0x0
	global_atomic_add_u64 v[0:1], v[6:7], off offset:8 scope:SCOPE_SYS
.LBB3_92:                               ;   in Loop: Header=BB3_29 Depth=1
	s_or_b32 exec_lo, exec_lo, s14
	s_wait_loadcnt 0x0
	global_load_b64 v[2:3], v[0:1], off offset:16
	s_wait_loadcnt 0x0
	v_cmp_eq_u64_e32 vcc_lo, 0, v[2:3]
	s_cbranch_vccnz .LBB3_94
; %bb.93:                               ;   in Loop: Header=BB3_29 Depth=1
	global_load_b32 v6, v[0:1], off offset:24
	s_wait_loadcnt 0x0
	v_readfirstlane_b32 s14, v6
	global_wb scope:SCOPE_SYS
	s_wait_storecnt 0x0
	global_store_b64 v[2:3], v[6:7], off scope:SCOPE_SYS
	s_and_b32 m0, s14, 0xffffff
	s_sendmsg sendmsg(MSG_INTERRUPT)
.LBB3_94:                               ;   in Loop: Header=BB3_29 Depth=1
	s_wait_alu 0xfffe
	s_or_b32 exec_lo, exec_lo, s1
	v_add_co_u32 v0, vcc_lo, v24, v30
	s_wait_alu 0xfffd
	v_add_co_ci_u32_e64 v1, null, 0, v25, vcc_lo
	s_branch .LBB3_98
.LBB3_95:                               ;   in Loop: Header=BB3_98 Depth=2
	s_wait_alu 0xfffe
	s_or_b32 exec_lo, exec_lo, s1
	s_delay_alu instid0(VALU_DEP_1)
	v_readfirstlane_b32 s1, v2
	s_cmp_eq_u32 s1, 0
	s_cbranch_scc1 .LBB3_97
; %bb.96:                               ;   in Loop: Header=BB3_98 Depth=2
	s_sleep 1
	s_cbranch_execnz .LBB3_98
	s_branch .LBB3_100
.LBB3_97:                               ;   in Loop: Header=BB3_29 Depth=1
	s_branch .LBB3_100
.LBB3_98:                               ;   Parent Loop BB3_29 Depth=1
                                        ; =>  This Inner Loop Header: Depth=2
	v_mov_b32_e32 v2, 1
	s_and_saveexec_b32 s1, s0
	s_cbranch_execz .LBB3_95
; %bb.99:                               ;   in Loop: Header=BB3_98 Depth=2
	global_load_b32 v2, v[26:27], off offset:20 scope:SCOPE_SYS
	s_wait_loadcnt 0x0
	global_inv scope:SCOPE_SYS
	v_and_b32_e32 v2, 1, v2
	s_branch .LBB3_95
.LBB3_100:                              ;   in Loop: Header=BB3_29 Depth=1
	global_load_b64 v[0:1], v[0:1], off
	s_and_saveexec_b32 s14, s0
	s_cbranch_execz .LBB3_28
; %bb.101:                              ;   in Loop: Header=BB3_29 Depth=1
	s_clause 0x2
	global_load_b64 v[2:3], v7, s[2:3] offset:40
	global_load_b64 v[14:15], v7, s[2:3] offset:24 scope:SCOPE_SYS
	global_load_b64 v[10:11], v7, s[2:3]
	s_wait_loadcnt 0x2
	v_readfirstlane_b32 s16, v2
	v_readfirstlane_b32 s17, v3
	s_add_nc_u64 s[0:1], s[16:17], 1
	s_wait_alu 0xfffe
	s_add_nc_u64 s[12:13], s[0:1], s[12:13]
	s_wait_alu 0xfffe
	s_cmp_eq_u64 s[12:13], 0
	s_cselect_b32 s1, s1, s13
	s_cselect_b32 s0, s0, s12
	s_wait_alu 0xfffe
	v_dual_mov_b32 v13, s1 :: v_dual_mov_b32 v12, s0
	s_and_b64 s[12:13], s[0:1], s[16:17]
	s_wait_alu 0xfffe
	s_mul_u64 s[12:13], s[12:13], 24
	s_wait_loadcnt 0x0
	s_wait_alu 0xfffe
	v_add_co_u32 v2, vcc_lo, v10, s12
	s_wait_alu 0xfffd
	v_add_co_ci_u32_e64 v3, null, s13, v11, vcc_lo
	global_store_b64 v[2:3], v[14:15], off
	global_wb scope:SCOPE_SYS
	s_wait_storecnt 0x0
	global_atomic_cmpswap_b64 v[12:13], v7, v[12:15], s[2:3] offset:24 th:TH_ATOMIC_RETURN scope:SCOPE_SYS
	s_wait_loadcnt 0x0
	v_cmp_ne_u64_e32 vcc_lo, v[12:13], v[14:15]
	s_and_b32 exec_lo, exec_lo, vcc_lo
	s_cbranch_execz .LBB3_28
; %bb.102:                              ;   in Loop: Header=BB3_29 Depth=1
	s_mov_b32 s12, 0
.LBB3_103:                              ;   Parent Loop BB3_29 Depth=1
                                        ; =>  This Inner Loop Header: Depth=2
	v_dual_mov_b32 v10, s0 :: v_dual_mov_b32 v11, s1
	s_sleep 1
	global_store_b64 v[2:3], v[12:13], off
	global_wb scope:SCOPE_SYS
	s_wait_storecnt 0x0
	global_atomic_cmpswap_b64 v[10:11], v7, v[10:13], s[2:3] offset:24 th:TH_ATOMIC_RETURN scope:SCOPE_SYS
	s_wait_loadcnt 0x0
	v_cmp_eq_u64_e32 vcc_lo, v[10:11], v[12:13]
	v_dual_mov_b32 v13, v11 :: v_dual_mov_b32 v12, v10
	s_wait_alu 0xfffe
	s_or_b32 s12, vcc_lo, s12
	s_wait_alu 0xfffe
	s_and_not1_b32 exec_lo, exec_lo, s12
	s_cbranch_execnz .LBB3_103
	s_branch .LBB3_28
.LBB3_104:
                                        ; implicit-def: $vgpr0_vgpr1
	s_cbranch_execnz .LBB3_106
	s_branch .LBB3_133
.LBB3_105:
	s_branch .LBB3_133
.LBB3_106:
	v_readfirstlane_b32 s0, v31
	v_mov_b32_e32 v7, 0
	v_mov_b32_e32 v8, 0
	s_wait_alu 0xf1ff
	s_delay_alu instid0(VALU_DEP_3)
	v_cmp_eq_u32_e64 s0, s0, v31
	s_and_saveexec_b32 s1, s0
	s_cbranch_execz .LBB3_112
; %bb.107:
	s_wait_loadcnt 0x0
	v_mov_b32_e32 v0, 0
	s_mov_b32 s4, exec_lo
	global_load_b64 v[9:10], v0, s[2:3] offset:24 scope:SCOPE_SYS
	s_wait_loadcnt 0x0
	global_inv scope:SCOPE_SYS
	s_clause 0x1
	global_load_b64 v[1:2], v0, s[2:3] offset:40
	global_load_b64 v[6:7], v0, s[2:3]
	s_wait_loadcnt 0x1
	v_and_b32_e32 v2, v2, v10
	v_and_b32_e32 v1, v1, v9
	s_delay_alu instid0(VALU_DEP_2) | instskip(NEXT) | instid1(VALU_DEP_2)
	v_mul_lo_u32 v2, 24, v2
	v_mul_lo_u32 v3, 0, v1
	v_mul_hi_u32 v8, 24, v1
	v_mul_lo_u32 v1, 24, v1
	s_delay_alu instid0(VALU_DEP_3) | instskip(SKIP_1) | instid1(VALU_DEP_2)
	v_add_nc_u32_e32 v2, v2, v3
	s_wait_loadcnt 0x0
	v_add_co_u32 v1, vcc_lo, v6, v1
	s_delay_alu instid0(VALU_DEP_2) | instskip(SKIP_1) | instid1(VALU_DEP_1)
	v_add_nc_u32_e32 v2, v2, v8
	s_wait_alu 0xfffd
	v_add_co_ci_u32_e64 v2, null, v7, v2, vcc_lo
	global_load_b64 v[7:8], v[1:2], off scope:SCOPE_SYS
	s_wait_loadcnt 0x0
	global_atomic_cmpswap_b64 v[7:8], v0, v[7:10], s[2:3] offset:24 th:TH_ATOMIC_RETURN scope:SCOPE_SYS
	s_wait_loadcnt 0x0
	global_inv scope:SCOPE_SYS
	v_cmpx_ne_u64_e64 v[7:8], v[9:10]
	s_cbranch_execz .LBB3_111
; %bb.108:
	s_mov_b32 s5, 0
.LBB3_109:                              ; =>This Inner Loop Header: Depth=1
	s_sleep 1
	s_clause 0x1
	global_load_b64 v[1:2], v0, s[2:3] offset:40
	global_load_b64 v[11:12], v0, s[2:3]
	v_dual_mov_b32 v10, v8 :: v_dual_mov_b32 v9, v7
	s_wait_loadcnt 0x1
	s_delay_alu instid0(VALU_DEP_1) | instskip(SKIP_1) | instid1(VALU_DEP_1)
	v_and_b32_e32 v1, v1, v9
	s_wait_loadcnt 0x0
	v_mad_co_u64_u32 v[6:7], null, v1, 24, v[11:12]
	s_delay_alu instid0(VALU_DEP_1) | instskip(NEXT) | instid1(VALU_DEP_1)
	v_dual_mov_b32 v1, v7 :: v_dual_and_b32 v2, v2, v10
	v_mad_co_u64_u32 v[1:2], null, v2, 24, v[1:2]
	s_delay_alu instid0(VALU_DEP_1)
	v_mov_b32_e32 v7, v1
	global_load_b64 v[7:8], v[6:7], off scope:SCOPE_SYS
	s_wait_loadcnt 0x0
	global_atomic_cmpswap_b64 v[7:8], v0, v[7:10], s[2:3] offset:24 th:TH_ATOMIC_RETURN scope:SCOPE_SYS
	s_wait_loadcnt 0x0
	global_inv scope:SCOPE_SYS
	v_cmp_eq_u64_e32 vcc_lo, v[7:8], v[9:10]
	s_wait_alu 0xfffe
	s_or_b32 s5, vcc_lo, s5
	s_wait_alu 0xfffe
	s_and_not1_b32 exec_lo, exec_lo, s5
	s_cbranch_execnz .LBB3_109
; %bb.110:
	s_or_b32 exec_lo, exec_lo, s5
.LBB3_111:
	s_wait_alu 0xfffe
	s_or_b32 exec_lo, exec_lo, s4
.LBB3_112:
	s_wait_alu 0xfffe
	s_or_b32 exec_lo, exec_lo, s1
	v_readfirstlane_b32 s5, v8
	v_mov_b32_e32 v6, 0
	v_readfirstlane_b32 s4, v7
	s_mov_b32 s1, exec_lo
	global_load_b64 v[9:10], v6, s[2:3] offset:40
	s_wait_loadcnt 0x1
	global_load_b128 v[0:3], v6, s[2:3]
	s_wait_loadcnt 0x1
	s_wait_alu 0xf1ff
	v_and_b32_e32 v11, s5, v10
	v_and_b32_e32 v10, s4, v9
	s_delay_alu instid0(VALU_DEP_2) | instskip(NEXT) | instid1(VALU_DEP_2)
	v_mul_lo_u32 v7, 24, v11
	v_mul_lo_u32 v8, 0, v10
	v_mul_hi_u32 v9, 24, v10
	v_mul_lo_u32 v12, 24, v10
	s_delay_alu instid0(VALU_DEP_3) | instskip(SKIP_1) | instid1(VALU_DEP_2)
	v_add_nc_u32_e32 v7, v7, v8
	s_wait_loadcnt 0x0
	v_add_co_u32 v8, vcc_lo, v0, v12
	s_delay_alu instid0(VALU_DEP_2) | instskip(SKIP_1) | instid1(VALU_DEP_1)
	v_add_nc_u32_e32 v7, v7, v9
	s_wait_alu 0xfffd
	v_add_co_ci_u32_e64 v9, null, v1, v7, vcc_lo
	s_and_saveexec_b32 s6, s0
	s_cbranch_execz .LBB3_114
; %bb.113:
	s_wait_alu 0xfffe
	v_dual_mov_b32 v12, s1 :: v_dual_mov_b32 v13, v6
	v_dual_mov_b32 v14, 2 :: v_dual_mov_b32 v15, 1
	global_store_b128 v[8:9], v[12:15], off offset:8
.LBB3_114:
	s_wait_alu 0xfffe
	s_or_b32 exec_lo, exec_lo, s6
	v_lshlrev_b64_e32 v[10:11], 12, v[10:11]
	s_mov_b32 s12, 0
	v_and_or_b32 v4, 0xffffff1f, v4, 32
	s_wait_alu 0xfffe
	s_mov_b32 s13, s12
	s_mov_b32 s14, s12
	s_mov_b32 s15, s12
	v_add_co_u32 v2, vcc_lo, v2, v10
	s_wait_alu 0xfffd
	v_add_co_ci_u32_e64 v3, null, v3, v11, vcc_lo
	v_dual_mov_b32 v7, v6 :: v_dual_mov_b32 v12, s12
	s_delay_alu instid0(VALU_DEP_3) | instskip(SKIP_1) | instid1(VALU_DEP_4)
	v_add_co_u32 v10, vcc_lo, v2, v30
	v_readfirstlane_b32 s6, v2
	v_readfirstlane_b32 s7, v3
	s_wait_alu 0xfffd
	v_add_co_ci_u32_e64 v11, null, 0, v3, vcc_lo
	s_wait_alu 0xfffe
	v_dual_mov_b32 v13, s13 :: v_dual_mov_b32 v14, s14
	v_mov_b32_e32 v15, s15
	s_clause 0x3
	global_store_b128 v30, v[4:7], s[6:7]
	global_store_b128 v30, v[12:15], s[6:7] offset:16
	global_store_b128 v30, v[12:15], s[6:7] offset:32
	;; [unrolled: 1-line block ×3, first 2 shown]
	s_and_saveexec_b32 s1, s0
	s_cbranch_execz .LBB3_122
; %bb.115:
	v_mov_b32_e32 v6, 0
	s_mov_b32 s6, exec_lo
	s_clause 0x1
	global_load_b64 v[14:15], v6, s[2:3] offset:32 scope:SCOPE_SYS
	global_load_b64 v[2:3], v6, s[2:3] offset:40
	v_dual_mov_b32 v13, s5 :: v_dual_mov_b32 v12, s4
	s_wait_loadcnt 0x0
	v_and_b32_e32 v3, s5, v3
	v_and_b32_e32 v2, s4, v2
	s_delay_alu instid0(VALU_DEP_2) | instskip(NEXT) | instid1(VALU_DEP_2)
	v_mul_lo_u32 v3, 24, v3
	v_mul_lo_u32 v4, 0, v2
	v_mul_hi_u32 v5, 24, v2
	v_mul_lo_u32 v2, 24, v2
	s_delay_alu instid0(VALU_DEP_3) | instskip(NEXT) | instid1(VALU_DEP_2)
	v_add_nc_u32_e32 v3, v3, v4
	v_add_co_u32 v4, vcc_lo, v0, v2
	s_delay_alu instid0(VALU_DEP_2) | instskip(SKIP_1) | instid1(VALU_DEP_1)
	v_add_nc_u32_e32 v3, v3, v5
	s_wait_alu 0xfffd
	v_add_co_ci_u32_e64 v5, null, v1, v3, vcc_lo
	global_store_b64 v[4:5], v[14:15], off
	global_wb scope:SCOPE_SYS
	s_wait_storecnt 0x0
	global_atomic_cmpswap_b64 v[2:3], v6, v[12:15], s[2:3] offset:32 th:TH_ATOMIC_RETURN scope:SCOPE_SYS
	s_wait_loadcnt 0x0
	v_cmpx_ne_u64_e64 v[2:3], v[14:15]
	s_cbranch_execz .LBB3_118
; %bb.116:
	s_mov_b32 s7, 0
.LBB3_117:                              ; =>This Inner Loop Header: Depth=1
	v_dual_mov_b32 v0, s4 :: v_dual_mov_b32 v1, s5
	s_sleep 1
	global_store_b64 v[4:5], v[2:3], off
	global_wb scope:SCOPE_SYS
	s_wait_storecnt 0x0
	global_atomic_cmpswap_b64 v[0:1], v6, v[0:3], s[2:3] offset:32 th:TH_ATOMIC_RETURN scope:SCOPE_SYS
	s_wait_loadcnt 0x0
	v_cmp_eq_u64_e32 vcc_lo, v[0:1], v[2:3]
	v_dual_mov_b32 v3, v1 :: v_dual_mov_b32 v2, v0
	s_wait_alu 0xfffe
	s_or_b32 s7, vcc_lo, s7
	s_wait_alu 0xfffe
	s_and_not1_b32 exec_lo, exec_lo, s7
	s_cbranch_execnz .LBB3_117
.LBB3_118:
	s_wait_alu 0xfffe
	s_or_b32 exec_lo, exec_lo, s6
	v_mov_b32_e32 v3, 0
	s_mov_b32 s7, exec_lo
	s_mov_b32 s6, exec_lo
	s_wait_alu 0xfffe
	v_mbcnt_lo_u32_b32 v2, s7, 0
	global_load_b64 v[0:1], v3, s[2:3] offset:16
	v_cmpx_eq_u32_e32 0, v2
	s_cbranch_execz .LBB3_120
; %bb.119:
	s_bcnt1_i32_b32 s7, s7
	s_wait_alu 0xfffe
	v_mov_b32_e32 v2, s7
	global_wb scope:SCOPE_SYS
	s_wait_loadcnt 0x0
	s_wait_storecnt 0x0
	global_atomic_add_u64 v[0:1], v[2:3], off offset:8 scope:SCOPE_SYS
.LBB3_120:
	s_or_b32 exec_lo, exec_lo, s6
	s_wait_loadcnt 0x0
	global_load_b64 v[2:3], v[0:1], off offset:16
	s_wait_loadcnt 0x0
	v_cmp_eq_u64_e32 vcc_lo, 0, v[2:3]
	s_cbranch_vccnz .LBB3_122
; %bb.121:
	global_load_b32 v0, v[0:1], off offset:24
	v_mov_b32_e32 v1, 0
	s_wait_loadcnt 0x0
	v_readfirstlane_b32 s6, v0
	global_wb scope:SCOPE_SYS
	s_wait_storecnt 0x0
	global_store_b64 v[2:3], v[0:1], off scope:SCOPE_SYS
	s_and_b32 m0, s6, 0xffffff
	s_sendmsg sendmsg(MSG_INTERRUPT)
.LBB3_122:
	s_wait_alu 0xfffe
	s_or_b32 exec_lo, exec_lo, s1
	s_branch .LBB3_126
.LBB3_123:                              ;   in Loop: Header=BB3_126 Depth=1
	s_wait_alu 0xfffe
	s_or_b32 exec_lo, exec_lo, s1
	s_delay_alu instid0(VALU_DEP_1)
	v_readfirstlane_b32 s1, v0
	s_cmp_eq_u32 s1, 0
	s_cbranch_scc1 .LBB3_125
; %bb.124:                              ;   in Loop: Header=BB3_126 Depth=1
	s_sleep 1
	s_cbranch_execnz .LBB3_126
	s_branch .LBB3_128
.LBB3_125:
	s_branch .LBB3_128
.LBB3_126:                              ; =>This Inner Loop Header: Depth=1
	v_mov_b32_e32 v0, 1
	s_and_saveexec_b32 s1, s0
	s_cbranch_execz .LBB3_123
; %bb.127:                              ;   in Loop: Header=BB3_126 Depth=1
	global_load_b32 v0, v[8:9], off offset:20 scope:SCOPE_SYS
	s_wait_loadcnt 0x0
	global_inv scope:SCOPE_SYS
	v_and_b32_e32 v0, 1, v0
	s_branch .LBB3_123
.LBB3_128:
	global_load_b64 v[0:1], v[10:11], off
	s_and_saveexec_b32 s6, s0
	s_cbranch_execz .LBB3_132
; %bb.129:
	v_mov_b32_e32 v8, 0
	s_clause 0x2
	global_load_b64 v[2:3], v8, s[2:3] offset:40
	global_load_b64 v[11:12], v8, s[2:3] offset:24 scope:SCOPE_SYS
	global_load_b64 v[4:5], v8, s[2:3]
	s_wait_loadcnt 0x2
	v_readfirstlane_b32 s10, v2
	v_readfirstlane_b32 s11, v3
	s_add_nc_u64 s[0:1], s[10:11], 1
	s_wait_alu 0xfffe
	s_add_nc_u64 s[4:5], s[0:1], s[4:5]
	s_wait_alu 0xfffe
	s_cmp_eq_u64 s[4:5], 0
	s_cselect_b32 s1, s1, s5
	s_cselect_b32 s0, s0, s4
	s_wait_alu 0xfffe
	v_mov_b32_e32 v10, s1
	s_and_b64 s[4:5], s[0:1], s[10:11]
	v_mov_b32_e32 v9, s0
	s_wait_alu 0xfffe
	s_mul_u64 s[4:5], s[4:5], 24
	s_wait_loadcnt 0x0
	s_wait_alu 0xfffe
	v_add_co_u32 v6, vcc_lo, v4, s4
	s_wait_alu 0xfffd
	v_add_co_ci_u32_e64 v7, null, s5, v5, vcc_lo
	global_store_b64 v[6:7], v[11:12], off
	global_wb scope:SCOPE_SYS
	s_wait_storecnt 0x0
	global_atomic_cmpswap_b64 v[4:5], v8, v[9:12], s[2:3] offset:24 th:TH_ATOMIC_RETURN scope:SCOPE_SYS
	s_wait_loadcnt 0x0
	v_cmp_ne_u64_e32 vcc_lo, v[4:5], v[11:12]
	s_and_b32 exec_lo, exec_lo, vcc_lo
	s_cbranch_execz .LBB3_132
; %bb.130:
	s_mov_b32 s4, 0
.LBB3_131:                              ; =>This Inner Loop Header: Depth=1
	v_dual_mov_b32 v2, s0 :: v_dual_mov_b32 v3, s1
	s_sleep 1
	global_store_b64 v[6:7], v[4:5], off
	global_wb scope:SCOPE_SYS
	s_wait_storecnt 0x0
	global_atomic_cmpswap_b64 v[2:3], v8, v[2:5], s[2:3] offset:24 th:TH_ATOMIC_RETURN scope:SCOPE_SYS
	s_wait_loadcnt 0x0
	v_cmp_eq_u64_e32 vcc_lo, v[2:3], v[4:5]
	v_dual_mov_b32 v5, v3 :: v_dual_mov_b32 v4, v2
	s_wait_alu 0xfffe
	s_or_b32 s4, vcc_lo, s4
	s_wait_alu 0xfffe
	s_and_not1_b32 exec_lo, exec_lo, s4
	s_cbranch_execnz .LBB3_131
.LBB3_132:
	s_wait_alu 0xfffe
	s_or_b32 exec_lo, exec_lo, s6
.LBB3_133:
	s_getpc_b64 s[4:5]
	s_wait_alu 0xfffe
	s_sext_i32_i16 s5, s5
	s_add_co_u32 s4, s4, .str@rel32@lo+12
	s_wait_alu 0xfffe
	s_add_co_ci_u32 s5, s5, .str@rel32@hi+24
	s_wait_alu 0xfffe
	s_cmp_lg_u64 s[4:5], 0
	s_cbranch_scc0 .LBB3_211
; %bb.134:
	s_wait_loadcnt 0x0
	v_dual_mov_b32 v7, 0 :: v_dual_and_b32 v32, 2, v0
	v_dual_mov_b32 v3, v1 :: v_dual_and_b32 v2, -3, v0
	v_dual_mov_b32 v8, 2 :: v_dual_mov_b32 v9, 1
	s_mov_b64 s[6:7], 0x53
	s_branch .LBB3_136
.LBB3_135:                              ;   in Loop: Header=BB3_136 Depth=1
	s_wait_alu 0xfffe
	s_or_b32 exec_lo, exec_lo, s14
	s_sub_nc_u64 s[6:7], s[6:7], s[10:11]
	s_add_nc_u64 s[4:5], s[4:5], s[10:11]
	s_wait_alu 0xfffe
	s_cmp_lg_u64 s[6:7], 0
	s_cbranch_scc0 .LBB3_212
.LBB3_136:                              ; =>This Loop Header: Depth=1
                                        ;     Child Loop BB3_139 Depth 2
                                        ;     Child Loop BB3_146 Depth 2
	;; [unrolled: 1-line block ×11, first 2 shown]
	s_wait_alu 0xfffe
	v_cmp_lt_u64_e64 s0, s[6:7], 56
	v_cmp_gt_u64_e64 s1, s[6:7], 7
	s_and_b32 s0, s0, exec_lo
	s_cselect_b32 s11, s7, 0
	s_cselect_b32 s10, s6, 56
	s_and_b32 vcc_lo, exec_lo, s1
	s_wait_alu 0xfffe
	s_cbranch_vccnz .LBB3_141
; %bb.137:                              ;   in Loop: Header=BB3_136 Depth=1
	v_mov_b32_e32 v4, 0
	v_mov_b32_e32 v5, 0
	s_cmp_eq_u64 s[6:7], 0
	s_cbranch_scc1 .LBB3_140
; %bb.138:                              ;   in Loop: Header=BB3_136 Depth=1
	s_mov_b64 s[0:1], 0
	s_mov_b64 s[12:13], 0
.LBB3_139:                              ;   Parent Loop BB3_136 Depth=1
                                        ; =>  This Inner Loop Header: Depth=2
	s_wait_alu 0xfffe
	s_add_nc_u64 s[14:15], s[4:5], s[12:13]
	s_add_nc_u64 s[12:13], s[12:13], 1
	global_load_u8 v6, v7, s[14:15]
	s_wait_alu 0xfffe
	s_cmp_lg_u32 s10, s12
	s_wait_loadcnt 0x0
	v_and_b32_e32 v6, 0xffff, v6
	s_delay_alu instid0(VALU_DEP_1) | instskip(SKIP_1) | instid1(VALU_DEP_1)
	v_lshlrev_b64_e32 v[10:11], s0, v[6:7]
	s_add_nc_u64 s[0:1], s[0:1], 8
	v_or_b32_e32 v4, v10, v4
	s_delay_alu instid0(VALU_DEP_2)
	v_or_b32_e32 v5, v11, v5
	s_cbranch_scc1 .LBB3_139
.LBB3_140:                              ;   in Loop: Header=BB3_136 Depth=1
	s_mov_b64 s[12:13], s[4:5]
	s_mov_b32 s16, 0
	s_cbranch_execz .LBB3_142
	s_branch .LBB3_143
.LBB3_141:                              ;   in Loop: Header=BB3_136 Depth=1
	s_add_nc_u64 s[12:13], s[4:5], 8
	s_mov_b32 s16, 0
.LBB3_142:                              ;   in Loop: Header=BB3_136 Depth=1
	global_load_b64 v[4:5], v7, s[4:5]
	s_add_co_i32 s16, s10, -8
.LBB3_143:                              ;   in Loop: Header=BB3_136 Depth=1
	s_wait_alu 0xfffe
	s_cmp_gt_u32 s16, 7
	s_cbranch_scc1 .LBB3_148
; %bb.144:                              ;   in Loop: Header=BB3_136 Depth=1
	v_mov_b32_e32 v10, 0
	v_mov_b32_e32 v11, 0
	s_cmp_eq_u32 s16, 0
	s_cbranch_scc1 .LBB3_147
; %bb.145:                              ;   in Loop: Header=BB3_136 Depth=1
	s_mov_b64 s[0:1], 0
	s_mov_b64 s[14:15], 0
.LBB3_146:                              ;   Parent Loop BB3_136 Depth=1
                                        ; =>  This Inner Loop Header: Depth=2
	s_wait_alu 0xfffe
	s_add_nc_u64 s[18:19], s[12:13], s[14:15]
	s_add_nc_u64 s[14:15], s[14:15], 1
	global_load_u8 v6, v7, s[18:19]
	s_wait_alu 0xfffe
	s_cmp_lg_u32 s16, s14
	s_wait_loadcnt 0x0
	v_and_b32_e32 v6, 0xffff, v6
	s_delay_alu instid0(VALU_DEP_1) | instskip(SKIP_1) | instid1(VALU_DEP_1)
	v_lshlrev_b64_e32 v[12:13], s0, v[6:7]
	s_add_nc_u64 s[0:1], s[0:1], 8
	v_or_b32_e32 v10, v12, v10
	s_delay_alu instid0(VALU_DEP_2)
	v_or_b32_e32 v11, v13, v11
	s_cbranch_scc1 .LBB3_146
.LBB3_147:                              ;   in Loop: Header=BB3_136 Depth=1
	s_mov_b64 s[0:1], s[12:13]
	s_mov_b32 s17, 0
	s_cbranch_execz .LBB3_149
	s_branch .LBB3_150
.LBB3_148:                              ;   in Loop: Header=BB3_136 Depth=1
	s_add_nc_u64 s[0:1], s[12:13], 8
                                        ; implicit-def: $vgpr10_vgpr11
	s_mov_b32 s17, 0
.LBB3_149:                              ;   in Loop: Header=BB3_136 Depth=1
	global_load_b64 v[10:11], v7, s[12:13]
	s_add_co_i32 s17, s16, -8
.LBB3_150:                              ;   in Loop: Header=BB3_136 Depth=1
	s_wait_alu 0xfffe
	s_cmp_gt_u32 s17, 7
	s_cbranch_scc1 .LBB3_155
; %bb.151:                              ;   in Loop: Header=BB3_136 Depth=1
	v_mov_b32_e32 v12, 0
	v_mov_b32_e32 v13, 0
	s_cmp_eq_u32 s17, 0
	s_cbranch_scc1 .LBB3_154
; %bb.152:                              ;   in Loop: Header=BB3_136 Depth=1
	s_mov_b64 s[12:13], 0
	s_mov_b64 s[14:15], 0
.LBB3_153:                              ;   Parent Loop BB3_136 Depth=1
                                        ; =>  This Inner Loop Header: Depth=2
	s_wait_alu 0xfffe
	s_add_nc_u64 s[18:19], s[0:1], s[14:15]
	s_add_nc_u64 s[14:15], s[14:15], 1
	global_load_u8 v6, v7, s[18:19]
	s_wait_alu 0xfffe
	s_cmp_lg_u32 s17, s14
	s_wait_loadcnt 0x0
	v_and_b32_e32 v6, 0xffff, v6
	s_delay_alu instid0(VALU_DEP_1) | instskip(SKIP_1) | instid1(VALU_DEP_1)
	v_lshlrev_b64_e32 v[14:15], s12, v[6:7]
	s_add_nc_u64 s[12:13], s[12:13], 8
	v_or_b32_e32 v12, v14, v12
	s_delay_alu instid0(VALU_DEP_2)
	v_or_b32_e32 v13, v15, v13
	s_cbranch_scc1 .LBB3_153
.LBB3_154:                              ;   in Loop: Header=BB3_136 Depth=1
	s_mov_b64 s[12:13], s[0:1]
	s_mov_b32 s16, 0
	s_cbranch_execz .LBB3_156
	s_branch .LBB3_157
.LBB3_155:                              ;   in Loop: Header=BB3_136 Depth=1
	s_add_nc_u64 s[12:13], s[0:1], 8
	s_mov_b32 s16, 0
.LBB3_156:                              ;   in Loop: Header=BB3_136 Depth=1
	global_load_b64 v[12:13], v7, s[0:1]
	s_add_co_i32 s16, s17, -8
.LBB3_157:                              ;   in Loop: Header=BB3_136 Depth=1
	s_wait_alu 0xfffe
	s_cmp_gt_u32 s16, 7
	s_cbranch_scc1 .LBB3_162
; %bb.158:                              ;   in Loop: Header=BB3_136 Depth=1
	v_mov_b32_e32 v14, 0
	v_mov_b32_e32 v15, 0
	s_cmp_eq_u32 s16, 0
	s_cbranch_scc1 .LBB3_161
; %bb.159:                              ;   in Loop: Header=BB3_136 Depth=1
	s_mov_b64 s[0:1], 0
	s_mov_b64 s[14:15], 0
.LBB3_160:                              ;   Parent Loop BB3_136 Depth=1
                                        ; =>  This Inner Loop Header: Depth=2
	s_wait_alu 0xfffe
	s_add_nc_u64 s[18:19], s[12:13], s[14:15]
	s_add_nc_u64 s[14:15], s[14:15], 1
	global_load_u8 v6, v7, s[18:19]
	s_wait_alu 0xfffe
	s_cmp_lg_u32 s16, s14
	s_wait_loadcnt 0x0
	v_and_b32_e32 v6, 0xffff, v6
	s_delay_alu instid0(VALU_DEP_1) | instskip(SKIP_1) | instid1(VALU_DEP_1)
	v_lshlrev_b64_e32 v[16:17], s0, v[6:7]
	s_add_nc_u64 s[0:1], s[0:1], 8
	v_or_b32_e32 v14, v16, v14
	s_delay_alu instid0(VALU_DEP_2)
	v_or_b32_e32 v15, v17, v15
	s_cbranch_scc1 .LBB3_160
.LBB3_161:                              ;   in Loop: Header=BB3_136 Depth=1
	s_mov_b64 s[0:1], s[12:13]
	s_mov_b32 s17, 0
	s_cbranch_execz .LBB3_163
	s_branch .LBB3_164
.LBB3_162:                              ;   in Loop: Header=BB3_136 Depth=1
	s_add_nc_u64 s[0:1], s[12:13], 8
                                        ; implicit-def: $vgpr14_vgpr15
	s_mov_b32 s17, 0
.LBB3_163:                              ;   in Loop: Header=BB3_136 Depth=1
	global_load_b64 v[14:15], v7, s[12:13]
	s_add_co_i32 s17, s16, -8
.LBB3_164:                              ;   in Loop: Header=BB3_136 Depth=1
	s_wait_alu 0xfffe
	s_cmp_gt_u32 s17, 7
	s_cbranch_scc1 .LBB3_169
; %bb.165:                              ;   in Loop: Header=BB3_136 Depth=1
	v_mov_b32_e32 v16, 0
	v_mov_b32_e32 v17, 0
	s_cmp_eq_u32 s17, 0
	s_cbranch_scc1 .LBB3_168
; %bb.166:                              ;   in Loop: Header=BB3_136 Depth=1
	s_mov_b64 s[12:13], 0
	s_mov_b64 s[14:15], 0
.LBB3_167:                              ;   Parent Loop BB3_136 Depth=1
                                        ; =>  This Inner Loop Header: Depth=2
	s_wait_alu 0xfffe
	s_add_nc_u64 s[18:19], s[0:1], s[14:15]
	s_add_nc_u64 s[14:15], s[14:15], 1
	global_load_u8 v6, v7, s[18:19]
	s_wait_alu 0xfffe
	s_cmp_lg_u32 s17, s14
	s_wait_loadcnt 0x0
	v_and_b32_e32 v6, 0xffff, v6
	s_delay_alu instid0(VALU_DEP_1) | instskip(SKIP_1) | instid1(VALU_DEP_1)
	v_lshlrev_b64_e32 v[18:19], s12, v[6:7]
	s_add_nc_u64 s[12:13], s[12:13], 8
	v_or_b32_e32 v16, v18, v16
	s_delay_alu instid0(VALU_DEP_2)
	v_or_b32_e32 v17, v19, v17
	s_cbranch_scc1 .LBB3_167
.LBB3_168:                              ;   in Loop: Header=BB3_136 Depth=1
	s_mov_b64 s[12:13], s[0:1]
	s_mov_b32 s16, 0
	s_cbranch_execz .LBB3_170
	s_branch .LBB3_171
.LBB3_169:                              ;   in Loop: Header=BB3_136 Depth=1
	s_add_nc_u64 s[12:13], s[0:1], 8
	s_mov_b32 s16, 0
.LBB3_170:                              ;   in Loop: Header=BB3_136 Depth=1
	global_load_b64 v[16:17], v7, s[0:1]
	s_add_co_i32 s16, s17, -8
.LBB3_171:                              ;   in Loop: Header=BB3_136 Depth=1
	s_wait_alu 0xfffe
	s_cmp_gt_u32 s16, 7
	s_cbranch_scc1 .LBB3_176
; %bb.172:                              ;   in Loop: Header=BB3_136 Depth=1
	v_mov_b32_e32 v18, 0
	v_mov_b32_e32 v19, 0
	s_cmp_eq_u32 s16, 0
	s_cbranch_scc1 .LBB3_175
; %bb.173:                              ;   in Loop: Header=BB3_136 Depth=1
	s_mov_b64 s[0:1], 0
	s_mov_b64 s[14:15], 0
.LBB3_174:                              ;   Parent Loop BB3_136 Depth=1
                                        ; =>  This Inner Loop Header: Depth=2
	s_wait_alu 0xfffe
	s_add_nc_u64 s[18:19], s[12:13], s[14:15]
	s_add_nc_u64 s[14:15], s[14:15], 1
	global_load_u8 v6, v7, s[18:19]
	s_wait_alu 0xfffe
	s_cmp_lg_u32 s16, s14
	s_wait_loadcnt 0x0
	v_and_b32_e32 v6, 0xffff, v6
	s_delay_alu instid0(VALU_DEP_1) | instskip(SKIP_1) | instid1(VALU_DEP_1)
	v_lshlrev_b64_e32 v[20:21], s0, v[6:7]
	s_add_nc_u64 s[0:1], s[0:1], 8
	v_or_b32_e32 v18, v20, v18
	s_delay_alu instid0(VALU_DEP_2)
	v_or_b32_e32 v19, v21, v19
	s_cbranch_scc1 .LBB3_174
.LBB3_175:                              ;   in Loop: Header=BB3_136 Depth=1
	s_mov_b64 s[0:1], s[12:13]
	s_mov_b32 s17, 0
	s_cbranch_execz .LBB3_177
	s_branch .LBB3_178
.LBB3_176:                              ;   in Loop: Header=BB3_136 Depth=1
	s_add_nc_u64 s[0:1], s[12:13], 8
                                        ; implicit-def: $vgpr18_vgpr19
	s_mov_b32 s17, 0
.LBB3_177:                              ;   in Loop: Header=BB3_136 Depth=1
	global_load_b64 v[18:19], v7, s[12:13]
	s_add_co_i32 s17, s16, -8
.LBB3_178:                              ;   in Loop: Header=BB3_136 Depth=1
	s_wait_alu 0xfffe
	s_cmp_gt_u32 s17, 7
	s_cbranch_scc1 .LBB3_183
; %bb.179:                              ;   in Loop: Header=BB3_136 Depth=1
	v_mov_b32_e32 v20, 0
	v_mov_b32_e32 v21, 0
	s_cmp_eq_u32 s17, 0
	s_cbranch_scc1 .LBB3_182
; %bb.180:                              ;   in Loop: Header=BB3_136 Depth=1
	s_mov_b64 s[12:13], 0
	s_mov_b64 s[14:15], s[0:1]
.LBB3_181:                              ;   Parent Loop BB3_136 Depth=1
                                        ; =>  This Inner Loop Header: Depth=2
	global_load_u8 v6, v7, s[14:15]
	s_add_co_i32 s17, s17, -1
	s_wait_alu 0xfffe
	s_add_nc_u64 s[14:15], s[14:15], 1
	s_cmp_lg_u32 s17, 0
	s_wait_loadcnt 0x0
	v_and_b32_e32 v6, 0xffff, v6
	s_delay_alu instid0(VALU_DEP_1) | instskip(SKIP_1) | instid1(VALU_DEP_1)
	v_lshlrev_b64_e32 v[22:23], s12, v[6:7]
	s_add_nc_u64 s[12:13], s[12:13], 8
	v_or_b32_e32 v20, v22, v20
	s_delay_alu instid0(VALU_DEP_2)
	v_or_b32_e32 v21, v23, v21
	s_cbranch_scc1 .LBB3_181
.LBB3_182:                              ;   in Loop: Header=BB3_136 Depth=1
	s_cbranch_execz .LBB3_184
	s_branch .LBB3_185
.LBB3_183:                              ;   in Loop: Header=BB3_136 Depth=1
.LBB3_184:                              ;   in Loop: Header=BB3_136 Depth=1
	global_load_b64 v[20:21], v7, s[0:1]
.LBB3_185:                              ;   in Loop: Header=BB3_136 Depth=1
	v_readfirstlane_b32 s0, v31
	v_mov_b32_e32 v26, 0
	v_mov_b32_e32 v27, 0
	s_wait_alu 0xf1ff
	s_delay_alu instid0(VALU_DEP_3)
	v_cmp_eq_u32_e64 s0, s0, v31
	s_and_saveexec_b32 s1, s0
	s_cbranch_execz .LBB3_191
; %bb.186:                              ;   in Loop: Header=BB3_136 Depth=1
	global_load_b64 v[24:25], v7, s[2:3] offset:24 scope:SCOPE_SYS
	s_wait_loadcnt 0x0
	global_inv scope:SCOPE_SYS
	s_clause 0x1
	global_load_b64 v[22:23], v7, s[2:3] offset:40
	global_load_b64 v[26:27], v7, s[2:3]
	s_mov_b32 s12, exec_lo
	s_wait_loadcnt 0x1
	v_and_b32_e32 v6, v23, v25
	v_and_b32_e32 v22, v22, v24
	s_delay_alu instid0(VALU_DEP_2) | instskip(NEXT) | instid1(VALU_DEP_2)
	v_mul_lo_u32 v6, 24, v6
	v_mul_lo_u32 v23, 0, v22
	v_mul_hi_u32 v28, 24, v22
	v_mul_lo_u32 v22, 24, v22
	s_delay_alu instid0(VALU_DEP_3) | instskip(SKIP_1) | instid1(VALU_DEP_2)
	v_add_nc_u32_e32 v6, v6, v23
	s_wait_loadcnt 0x0
	v_add_co_u32 v22, vcc_lo, v26, v22
	s_delay_alu instid0(VALU_DEP_2) | instskip(SKIP_1) | instid1(VALU_DEP_1)
	v_add_nc_u32_e32 v6, v6, v28
	s_wait_alu 0xfffd
	v_add_co_ci_u32_e64 v23, null, v27, v6, vcc_lo
	global_load_b64 v[22:23], v[22:23], off scope:SCOPE_SYS
	s_wait_loadcnt 0x0
	global_atomic_cmpswap_b64 v[26:27], v7, v[22:25], s[2:3] offset:24 th:TH_ATOMIC_RETURN scope:SCOPE_SYS
	s_wait_loadcnt 0x0
	global_inv scope:SCOPE_SYS
	v_cmpx_ne_u64_e64 v[26:27], v[24:25]
	s_cbranch_execz .LBB3_190
; %bb.187:                              ;   in Loop: Header=BB3_136 Depth=1
	s_mov_b32 s13, 0
.LBB3_188:                              ;   Parent Loop BB3_136 Depth=1
                                        ; =>  This Inner Loop Header: Depth=2
	s_sleep 1
	s_clause 0x1
	global_load_b64 v[22:23], v7, s[2:3] offset:40
	global_load_b64 v[28:29], v7, s[2:3]
	v_dual_mov_b32 v24, v26 :: v_dual_mov_b32 v25, v27
	s_wait_loadcnt 0x1
	s_delay_alu instid0(VALU_DEP_1) | instskip(NEXT) | instid1(VALU_DEP_2)
	v_and_b32_e32 v6, v22, v24
	v_and_b32_e32 v22, v23, v25
	s_wait_loadcnt 0x0
	s_delay_alu instid0(VALU_DEP_2) | instskip(NEXT) | instid1(VALU_DEP_1)
	v_mad_co_u64_u32 v[26:27], null, v6, 24, v[28:29]
	v_mov_b32_e32 v6, v27
	s_delay_alu instid0(VALU_DEP_1) | instskip(NEXT) | instid1(VALU_DEP_1)
	v_mad_co_u64_u32 v[22:23], null, v22, 24, v[6:7]
	v_mov_b32_e32 v27, v22
	global_load_b64 v[22:23], v[26:27], off scope:SCOPE_SYS
	s_wait_loadcnt 0x0
	global_atomic_cmpswap_b64 v[26:27], v7, v[22:25], s[2:3] offset:24 th:TH_ATOMIC_RETURN scope:SCOPE_SYS
	s_wait_loadcnt 0x0
	global_inv scope:SCOPE_SYS
	v_cmp_eq_u64_e32 vcc_lo, v[26:27], v[24:25]
	s_wait_alu 0xfffe
	s_or_b32 s13, vcc_lo, s13
	s_wait_alu 0xfffe
	s_and_not1_b32 exec_lo, exec_lo, s13
	s_cbranch_execnz .LBB3_188
; %bb.189:                              ;   in Loop: Header=BB3_136 Depth=1
	s_or_b32 exec_lo, exec_lo, s13
.LBB3_190:                              ;   in Loop: Header=BB3_136 Depth=1
	s_wait_alu 0xfffe
	s_or_b32 exec_lo, exec_lo, s12
.LBB3_191:                              ;   in Loop: Header=BB3_136 Depth=1
	s_wait_alu 0xfffe
	s_or_b32 exec_lo, exec_lo, s1
	s_clause 0x1
	global_load_b64 v[28:29], v7, s[2:3] offset:40
	global_load_b128 v[22:25], v7, s[2:3]
	v_readfirstlane_b32 s13, v27
	v_readfirstlane_b32 s12, v26
	s_mov_b32 s1, exec_lo
	s_wait_loadcnt 0x1
	s_wait_alu 0xf1ff
	v_and_b32_e32 v29, s13, v29
	v_and_b32_e32 v28, s12, v28
	s_delay_alu instid0(VALU_DEP_2) | instskip(NEXT) | instid1(VALU_DEP_2)
	v_mul_lo_u32 v6, 24, v29
	v_mul_lo_u32 v26, 0, v28
	v_mul_hi_u32 v27, 24, v28
	v_mul_lo_u32 v33, 24, v28
	s_delay_alu instid0(VALU_DEP_3) | instskip(SKIP_1) | instid1(VALU_DEP_2)
	v_add_nc_u32_e32 v6, v6, v26
	s_wait_loadcnt 0x0
	v_add_co_u32 v26, vcc_lo, v22, v33
	s_delay_alu instid0(VALU_DEP_2) | instskip(SKIP_1) | instid1(VALU_DEP_1)
	v_add_nc_u32_e32 v6, v6, v27
	s_wait_alu 0xfffd
	v_add_co_ci_u32_e64 v27, null, v23, v6, vcc_lo
	s_and_saveexec_b32 s14, s0
	s_cbranch_execz .LBB3_193
; %bb.192:                              ;   in Loop: Header=BB3_136 Depth=1
	s_wait_alu 0xfffe
	v_mov_b32_e32 v6, s1
	global_store_b128 v[26:27], v[6:9], off offset:8
.LBB3_193:                              ;   in Loop: Header=BB3_136 Depth=1
	s_wait_alu 0xfffe
	s_or_b32 exec_lo, exec_lo, s14
	v_cmp_lt_u64_e64 vcc_lo, s[6:7], 57
	v_lshlrev_b64_e32 v[28:29], 12, v[28:29]
	v_and_b32_e32 v2, 0xffffff1f, v2
	s_lshl_b32 s1, s10, 2
	s_wait_alu 0xfffe
	s_add_co_i32 s1, s1, 28
	s_wait_alu 0xfffd
	v_cndmask_b32_e32 v6, 0, v32, vcc_lo
	v_add_co_u32 v24, vcc_lo, v24, v28
	s_wait_alu 0xfffd
	v_add_co_ci_u32_e64 v25, null, v25, v29, vcc_lo
	s_delay_alu instid0(VALU_DEP_3) | instskip(NEXT) | instid1(VALU_DEP_3)
	v_or_b32_e32 v2, v2, v6
	v_readfirstlane_b32 s14, v24
	s_delay_alu instid0(VALU_DEP_3) | instskip(SKIP_1) | instid1(VALU_DEP_3)
	v_readfirstlane_b32 s15, v25
	s_wait_alu 0xfffe
	v_and_or_b32 v2, 0x1e0, s1, v2
	s_clause 0x3
	global_store_b128 v30, v[2:5], s[14:15]
	global_store_b128 v30, v[10:13], s[14:15] offset:16
	global_store_b128 v30, v[14:17], s[14:15] offset:32
	;; [unrolled: 1-line block ×3, first 2 shown]
	s_and_saveexec_b32 s1, s0
	s_cbranch_execz .LBB3_201
; %bb.194:                              ;   in Loop: Header=BB3_136 Depth=1
	s_clause 0x1
	global_load_b64 v[14:15], v7, s[2:3] offset:32 scope:SCOPE_SYS
	global_load_b64 v[2:3], v7, s[2:3] offset:40
	s_mov_b32 s14, exec_lo
	v_dual_mov_b32 v12, s12 :: v_dual_mov_b32 v13, s13
	s_wait_loadcnt 0x0
	v_and_b32_e32 v2, s12, v2
	v_and_b32_e32 v3, s13, v3
	s_delay_alu instid0(VALU_DEP_2) | instskip(NEXT) | instid1(VALU_DEP_2)
	v_mul_lo_u32 v4, 0, v2
	v_mul_lo_u32 v3, 24, v3
	v_mul_hi_u32 v5, 24, v2
	v_mul_lo_u32 v2, 24, v2
	s_delay_alu instid0(VALU_DEP_3) | instskip(NEXT) | instid1(VALU_DEP_2)
	v_add_nc_u32_e32 v3, v3, v4
	v_add_co_u32 v10, vcc_lo, v22, v2
	s_delay_alu instid0(VALU_DEP_2) | instskip(SKIP_1) | instid1(VALU_DEP_1)
	v_add_nc_u32_e32 v3, v3, v5
	s_wait_alu 0xfffd
	v_add_co_ci_u32_e64 v11, null, v23, v3, vcc_lo
	global_store_b64 v[10:11], v[14:15], off
	global_wb scope:SCOPE_SYS
	s_wait_storecnt 0x0
	global_atomic_cmpswap_b64 v[4:5], v7, v[12:15], s[2:3] offset:32 th:TH_ATOMIC_RETURN scope:SCOPE_SYS
	s_wait_loadcnt 0x0
	v_cmpx_ne_u64_e64 v[4:5], v[14:15]
	s_cbranch_execz .LBB3_197
; %bb.195:                              ;   in Loop: Header=BB3_136 Depth=1
	s_mov_b32 s15, 0
.LBB3_196:                              ;   Parent Loop BB3_136 Depth=1
                                        ; =>  This Inner Loop Header: Depth=2
	v_dual_mov_b32 v2, s12 :: v_dual_mov_b32 v3, s13
	s_sleep 1
	global_store_b64 v[10:11], v[4:5], off
	global_wb scope:SCOPE_SYS
	s_wait_storecnt 0x0
	global_atomic_cmpswap_b64 v[2:3], v7, v[2:5], s[2:3] offset:32 th:TH_ATOMIC_RETURN scope:SCOPE_SYS
	s_wait_loadcnt 0x0
	v_cmp_eq_u64_e32 vcc_lo, v[2:3], v[4:5]
	v_dual_mov_b32 v5, v3 :: v_dual_mov_b32 v4, v2
	s_wait_alu 0xfffe
	s_or_b32 s15, vcc_lo, s15
	s_wait_alu 0xfffe
	s_and_not1_b32 exec_lo, exec_lo, s15
	s_cbranch_execnz .LBB3_196
.LBB3_197:                              ;   in Loop: Header=BB3_136 Depth=1
	s_wait_alu 0xfffe
	s_or_b32 exec_lo, exec_lo, s14
	global_load_b64 v[2:3], v7, s[2:3] offset:16
	s_mov_b32 s15, exec_lo
	s_mov_b32 s14, exec_lo
	s_wait_alu 0xfffe
	v_mbcnt_lo_u32_b32 v4, s15, 0
	s_delay_alu instid0(VALU_DEP_1)
	v_cmpx_eq_u32_e32 0, v4
	s_cbranch_execz .LBB3_199
; %bb.198:                              ;   in Loop: Header=BB3_136 Depth=1
	s_bcnt1_i32_b32 s15, s15
	s_wait_alu 0xfffe
	v_mov_b32_e32 v6, s15
	global_wb scope:SCOPE_SYS
	s_wait_loadcnt 0x0
	s_wait_storecnt 0x0
	global_atomic_add_u64 v[2:3], v[6:7], off offset:8 scope:SCOPE_SYS
.LBB3_199:                              ;   in Loop: Header=BB3_136 Depth=1
	s_or_b32 exec_lo, exec_lo, s14
	s_wait_loadcnt 0x0
	global_load_b64 v[4:5], v[2:3], off offset:16
	s_wait_loadcnt 0x0
	v_cmp_eq_u64_e32 vcc_lo, 0, v[4:5]
	s_cbranch_vccnz .LBB3_201
; %bb.200:                              ;   in Loop: Header=BB3_136 Depth=1
	global_load_b32 v6, v[2:3], off offset:24
	s_wait_loadcnt 0x0
	v_readfirstlane_b32 s14, v6
	global_wb scope:SCOPE_SYS
	s_wait_storecnt 0x0
	global_store_b64 v[4:5], v[6:7], off scope:SCOPE_SYS
	s_and_b32 m0, s14, 0xffffff
	s_sendmsg sendmsg(MSG_INTERRUPT)
.LBB3_201:                              ;   in Loop: Header=BB3_136 Depth=1
	s_wait_alu 0xfffe
	s_or_b32 exec_lo, exec_lo, s1
	v_add_co_u32 v2, vcc_lo, v24, v30
	s_wait_alu 0xfffd
	v_add_co_ci_u32_e64 v3, null, 0, v25, vcc_lo
	s_branch .LBB3_205
.LBB3_202:                              ;   in Loop: Header=BB3_205 Depth=2
	s_wait_alu 0xfffe
	s_or_b32 exec_lo, exec_lo, s1
	s_delay_alu instid0(VALU_DEP_1)
	v_readfirstlane_b32 s1, v4
	s_cmp_eq_u32 s1, 0
	s_cbranch_scc1 .LBB3_204
; %bb.203:                              ;   in Loop: Header=BB3_205 Depth=2
	s_sleep 1
	s_cbranch_execnz .LBB3_205
	s_branch .LBB3_207
.LBB3_204:                              ;   in Loop: Header=BB3_136 Depth=1
	s_branch .LBB3_207
.LBB3_205:                              ;   Parent Loop BB3_136 Depth=1
                                        ; =>  This Inner Loop Header: Depth=2
	v_mov_b32_e32 v4, 1
	s_and_saveexec_b32 s1, s0
	s_cbranch_execz .LBB3_202
; %bb.206:                              ;   in Loop: Header=BB3_205 Depth=2
	global_load_b32 v4, v[26:27], off offset:20 scope:SCOPE_SYS
	s_wait_loadcnt 0x0
	global_inv scope:SCOPE_SYS
	v_and_b32_e32 v4, 1, v4
	s_branch .LBB3_202
.LBB3_207:                              ;   in Loop: Header=BB3_136 Depth=1
	global_load_b64 v[2:3], v[2:3], off
	s_and_saveexec_b32 s14, s0
	s_cbranch_execz .LBB3_135
; %bb.208:                              ;   in Loop: Header=BB3_136 Depth=1
	s_clause 0x2
	global_load_b64 v[4:5], v7, s[2:3] offset:40
	global_load_b64 v[14:15], v7, s[2:3] offset:24 scope:SCOPE_SYS
	global_load_b64 v[10:11], v7, s[2:3]
	s_wait_loadcnt 0x2
	v_readfirstlane_b32 s16, v4
	v_readfirstlane_b32 s17, v5
	s_add_nc_u64 s[0:1], s[16:17], 1
	s_wait_alu 0xfffe
	s_add_nc_u64 s[12:13], s[0:1], s[12:13]
	s_wait_alu 0xfffe
	s_cmp_eq_u64 s[12:13], 0
	s_cselect_b32 s1, s1, s13
	s_cselect_b32 s0, s0, s12
	s_wait_alu 0xfffe
	v_dual_mov_b32 v13, s1 :: v_dual_mov_b32 v12, s0
	s_and_b64 s[12:13], s[0:1], s[16:17]
	s_wait_alu 0xfffe
	s_mul_u64 s[12:13], s[12:13], 24
	s_wait_loadcnt 0x0
	s_wait_alu 0xfffe
	v_add_co_u32 v4, vcc_lo, v10, s12
	s_wait_alu 0xfffd
	v_add_co_ci_u32_e64 v5, null, s13, v11, vcc_lo
	global_store_b64 v[4:5], v[14:15], off
	global_wb scope:SCOPE_SYS
	s_wait_storecnt 0x0
	global_atomic_cmpswap_b64 v[12:13], v7, v[12:15], s[2:3] offset:24 th:TH_ATOMIC_RETURN scope:SCOPE_SYS
	s_wait_loadcnt 0x0
	v_cmp_ne_u64_e32 vcc_lo, v[12:13], v[14:15]
	s_and_b32 exec_lo, exec_lo, vcc_lo
	s_cbranch_execz .LBB3_135
; %bb.209:                              ;   in Loop: Header=BB3_136 Depth=1
	s_mov_b32 s12, 0
.LBB3_210:                              ;   Parent Loop BB3_136 Depth=1
                                        ; =>  This Inner Loop Header: Depth=2
	v_dual_mov_b32 v10, s0 :: v_dual_mov_b32 v11, s1
	s_sleep 1
	global_store_b64 v[4:5], v[12:13], off
	global_wb scope:SCOPE_SYS
	s_wait_storecnt 0x0
	global_atomic_cmpswap_b64 v[10:11], v7, v[10:13], s[2:3] offset:24 th:TH_ATOMIC_RETURN scope:SCOPE_SYS
	s_wait_loadcnt 0x0
	v_cmp_eq_u64_e32 vcc_lo, v[10:11], v[12:13]
	v_dual_mov_b32 v13, v11 :: v_dual_mov_b32 v12, v10
	s_wait_alu 0xfffe
	s_or_b32 s12, vcc_lo, s12
	s_wait_alu 0xfffe
	s_and_not1_b32 exec_lo, exec_lo, s12
	s_cbranch_execnz .LBB3_210
	s_branch .LBB3_135
.LBB3_211:
                                        ; implicit-def: $vgpr2_vgpr3
	s_cbranch_execnz .LBB3_213
	s_branch .LBB3_240
.LBB3_212:
	s_branch .LBB3_240
.LBB3_213:
	v_readfirstlane_b32 s0, v31
	v_mov_b32_e32 v8, 0
	v_mov_b32_e32 v9, 0
	s_wait_alu 0xf1ff
	s_delay_alu instid0(VALU_DEP_3)
	v_cmp_eq_u32_e64 s0, s0, v31
	s_and_saveexec_b32 s1, s0
	s_cbranch_execz .LBB3_219
; %bb.214:
	s_wait_loadcnt 0x0
	v_mov_b32_e32 v2, 0
	s_mov_b32 s4, exec_lo
	global_load_b64 v[5:6], v2, s[2:3] offset:24 scope:SCOPE_SYS
	s_wait_loadcnt 0x0
	global_inv scope:SCOPE_SYS
	s_clause 0x1
	global_load_b64 v[3:4], v2, s[2:3] offset:40
	global_load_b64 v[7:8], v2, s[2:3]
	s_wait_loadcnt 0x1
	v_and_b32_e32 v4, v4, v6
	v_and_b32_e32 v3, v3, v5
	s_delay_alu instid0(VALU_DEP_2) | instskip(NEXT) | instid1(VALU_DEP_2)
	v_mul_lo_u32 v4, 24, v4
	v_mul_lo_u32 v9, 0, v3
	v_mul_hi_u32 v10, 24, v3
	v_mul_lo_u32 v3, 24, v3
	s_delay_alu instid0(VALU_DEP_3) | instskip(SKIP_1) | instid1(VALU_DEP_2)
	v_add_nc_u32_e32 v4, v4, v9
	s_wait_loadcnt 0x0
	v_add_co_u32 v3, vcc_lo, v7, v3
	s_delay_alu instid0(VALU_DEP_2) | instskip(SKIP_1) | instid1(VALU_DEP_1)
	v_add_nc_u32_e32 v4, v4, v10
	s_wait_alu 0xfffd
	v_add_co_ci_u32_e64 v4, null, v8, v4, vcc_lo
	global_load_b64 v[3:4], v[3:4], off scope:SCOPE_SYS
	s_wait_loadcnt 0x0
	global_atomic_cmpswap_b64 v[8:9], v2, v[3:6], s[2:3] offset:24 th:TH_ATOMIC_RETURN scope:SCOPE_SYS
	s_wait_loadcnt 0x0
	global_inv scope:SCOPE_SYS
	v_cmpx_ne_u64_e64 v[8:9], v[5:6]
	s_cbranch_execz .LBB3_218
; %bb.215:
	s_mov_b32 s5, 0
.LBB3_216:                              ; =>This Inner Loop Header: Depth=1
	s_sleep 1
	s_clause 0x1
	global_load_b64 v[3:4], v2, s[2:3] offset:40
	global_load_b64 v[10:11], v2, s[2:3]
	v_dual_mov_b32 v5, v8 :: v_dual_mov_b32 v6, v9
	s_wait_loadcnt 0x1
	s_delay_alu instid0(VALU_DEP_1) | instskip(NEXT) | instid1(VALU_DEP_2)
	v_and_b32_e32 v3, v3, v5
	v_and_b32_e32 v4, v4, v6
	s_wait_loadcnt 0x0
	s_delay_alu instid0(VALU_DEP_2) | instskip(NEXT) | instid1(VALU_DEP_1)
	v_mad_co_u64_u32 v[7:8], null, v3, 24, v[10:11]
	v_mov_b32_e32 v3, v8
	s_delay_alu instid0(VALU_DEP_1) | instskip(NEXT) | instid1(VALU_DEP_1)
	v_mad_co_u64_u32 v[3:4], null, v4, 24, v[3:4]
	v_mov_b32_e32 v8, v3
	global_load_b64 v[3:4], v[7:8], off scope:SCOPE_SYS
	s_wait_loadcnt 0x0
	global_atomic_cmpswap_b64 v[8:9], v2, v[3:6], s[2:3] offset:24 th:TH_ATOMIC_RETURN scope:SCOPE_SYS
	s_wait_loadcnt 0x0
	global_inv scope:SCOPE_SYS
	v_cmp_eq_u64_e32 vcc_lo, v[8:9], v[5:6]
	s_wait_alu 0xfffe
	s_or_b32 s5, vcc_lo, s5
	s_wait_alu 0xfffe
	s_and_not1_b32 exec_lo, exec_lo, s5
	s_cbranch_execnz .LBB3_216
; %bb.217:
	s_or_b32 exec_lo, exec_lo, s5
.LBB3_218:
	s_wait_alu 0xfffe
	s_or_b32 exec_lo, exec_lo, s4
.LBB3_219:
	s_wait_alu 0xfffe
	s_or_b32 exec_lo, exec_lo, s1
	v_readfirstlane_b32 s5, v9
	s_wait_loadcnt 0x0
	v_mov_b32_e32 v2, 0
	v_readfirstlane_b32 s4, v8
	s_mov_b32 s1, exec_lo
	s_clause 0x1
	global_load_b64 v[10:11], v2, s[2:3] offset:40
	global_load_b128 v[4:7], v2, s[2:3]
	s_wait_loadcnt 0x1
	s_wait_alu 0xf1ff
	v_and_b32_e32 v11, s5, v11
	v_and_b32_e32 v10, s4, v10
	s_delay_alu instid0(VALU_DEP_2) | instskip(NEXT) | instid1(VALU_DEP_2)
	v_mul_lo_u32 v3, 24, v11
	v_mul_lo_u32 v8, 0, v10
	v_mul_hi_u32 v9, 24, v10
	v_mul_lo_u32 v12, 24, v10
	s_delay_alu instid0(VALU_DEP_3) | instskip(SKIP_1) | instid1(VALU_DEP_2)
	v_add_nc_u32_e32 v3, v3, v8
	s_wait_loadcnt 0x0
	v_add_co_u32 v8, vcc_lo, v4, v12
	s_delay_alu instid0(VALU_DEP_2) | instskip(SKIP_1) | instid1(VALU_DEP_1)
	v_add_nc_u32_e32 v3, v3, v9
	s_wait_alu 0xfffd
	v_add_co_ci_u32_e64 v9, null, v5, v3, vcc_lo
	s_and_saveexec_b32 s6, s0
	s_cbranch_execz .LBB3_221
; %bb.220:
	s_wait_alu 0xfffe
	v_dual_mov_b32 v12, s1 :: v_dual_mov_b32 v13, v2
	v_dual_mov_b32 v14, 2 :: v_dual_mov_b32 v15, 1
	global_store_b128 v[8:9], v[12:15], off offset:8
.LBB3_221:
	s_wait_alu 0xfffe
	s_or_b32 exec_lo, exec_lo, s6
	v_lshlrev_b64_e32 v[10:11], 12, v[10:11]
	s_mov_b32 s12, 0
	v_and_or_b32 v0, 0xffffff1f, v0, 32
	s_wait_alu 0xfffe
	s_mov_b32 s13, s12
	s_mov_b32 s14, s12
	;; [unrolled: 1-line block ×3, first 2 shown]
	v_add_co_u32 v6, vcc_lo, v6, v10
	s_wait_alu 0xfffd
	v_add_co_ci_u32_e64 v7, null, v7, v11, vcc_lo
	v_dual_mov_b32 v3, v2 :: v_dual_mov_b32 v10, s12
	s_delay_alu instid0(VALU_DEP_3) | instskip(SKIP_1) | instid1(VALU_DEP_4)
	v_readfirstlane_b32 s6, v6
	v_add_co_u32 v6, vcc_lo, v6, v30
	v_readfirstlane_b32 s7, v7
	s_wait_alu 0xfffd
	v_add_co_ci_u32_e64 v7, null, 0, v7, vcc_lo
	s_wait_alu 0xfffe
	v_dual_mov_b32 v11, s13 :: v_dual_mov_b32 v12, s14
	v_mov_b32_e32 v13, s15
	s_clause 0x3
	global_store_b128 v30, v[0:3], s[6:7]
	global_store_b128 v30, v[10:13], s[6:7] offset:16
	global_store_b128 v30, v[10:13], s[6:7] offset:32
	;; [unrolled: 1-line block ×3, first 2 shown]
	s_and_saveexec_b32 s1, s0
	s_cbranch_execz .LBB3_229
; %bb.222:
	v_mov_b32_e32 v10, 0
	s_mov_b32 s6, exec_lo
	s_clause 0x1
	global_load_b64 v[13:14], v10, s[2:3] offset:32 scope:SCOPE_SYS
	global_load_b64 v[0:1], v10, s[2:3] offset:40
	v_dual_mov_b32 v11, s4 :: v_dual_mov_b32 v12, s5
	s_wait_loadcnt 0x0
	v_and_b32_e32 v1, s5, v1
	v_and_b32_e32 v0, s4, v0
	s_delay_alu instid0(VALU_DEP_2) | instskip(NEXT) | instid1(VALU_DEP_2)
	v_mul_lo_u32 v1, 24, v1
	v_mul_lo_u32 v2, 0, v0
	v_mul_hi_u32 v3, 24, v0
	v_mul_lo_u32 v0, 24, v0
	s_delay_alu instid0(VALU_DEP_3) | instskip(NEXT) | instid1(VALU_DEP_2)
	v_add_nc_u32_e32 v1, v1, v2
	v_add_co_u32 v4, vcc_lo, v4, v0
	s_delay_alu instid0(VALU_DEP_2) | instskip(SKIP_1) | instid1(VALU_DEP_1)
	v_add_nc_u32_e32 v1, v1, v3
	s_wait_alu 0xfffd
	v_add_co_ci_u32_e64 v5, null, v5, v1, vcc_lo
	global_store_b64 v[4:5], v[13:14], off
	global_wb scope:SCOPE_SYS
	s_wait_storecnt 0x0
	global_atomic_cmpswap_b64 v[2:3], v10, v[11:14], s[2:3] offset:32 th:TH_ATOMIC_RETURN scope:SCOPE_SYS
	s_wait_loadcnt 0x0
	v_cmpx_ne_u64_e64 v[2:3], v[13:14]
	s_cbranch_execz .LBB3_225
; %bb.223:
	s_mov_b32 s7, 0
.LBB3_224:                              ; =>This Inner Loop Header: Depth=1
	v_dual_mov_b32 v0, s4 :: v_dual_mov_b32 v1, s5
	s_sleep 1
	global_store_b64 v[4:5], v[2:3], off
	global_wb scope:SCOPE_SYS
	s_wait_storecnt 0x0
	global_atomic_cmpswap_b64 v[0:1], v10, v[0:3], s[2:3] offset:32 th:TH_ATOMIC_RETURN scope:SCOPE_SYS
	s_wait_loadcnt 0x0
	v_cmp_eq_u64_e32 vcc_lo, v[0:1], v[2:3]
	v_dual_mov_b32 v3, v1 :: v_dual_mov_b32 v2, v0
	s_wait_alu 0xfffe
	s_or_b32 s7, vcc_lo, s7
	s_wait_alu 0xfffe
	s_and_not1_b32 exec_lo, exec_lo, s7
	s_cbranch_execnz .LBB3_224
.LBB3_225:
	s_wait_alu 0xfffe
	s_or_b32 exec_lo, exec_lo, s6
	v_mov_b32_e32 v3, 0
	s_mov_b32 s7, exec_lo
	s_mov_b32 s6, exec_lo
	s_wait_alu 0xfffe
	v_mbcnt_lo_u32_b32 v2, s7, 0
	global_load_b64 v[0:1], v3, s[2:3] offset:16
	v_cmpx_eq_u32_e32 0, v2
	s_cbranch_execz .LBB3_227
; %bb.226:
	s_bcnt1_i32_b32 s7, s7
	s_wait_alu 0xfffe
	v_mov_b32_e32 v2, s7
	global_wb scope:SCOPE_SYS
	s_wait_loadcnt 0x0
	s_wait_storecnt 0x0
	global_atomic_add_u64 v[0:1], v[2:3], off offset:8 scope:SCOPE_SYS
.LBB3_227:
	s_or_b32 exec_lo, exec_lo, s6
	s_wait_loadcnt 0x0
	global_load_b64 v[2:3], v[0:1], off offset:16
	s_wait_loadcnt 0x0
	v_cmp_eq_u64_e32 vcc_lo, 0, v[2:3]
	s_cbranch_vccnz .LBB3_229
; %bb.228:
	global_load_b32 v0, v[0:1], off offset:24
	v_mov_b32_e32 v1, 0
	s_wait_loadcnt 0x0
	v_readfirstlane_b32 s6, v0
	global_wb scope:SCOPE_SYS
	s_wait_storecnt 0x0
	global_store_b64 v[2:3], v[0:1], off scope:SCOPE_SYS
	s_and_b32 m0, s6, 0xffffff
	s_sendmsg sendmsg(MSG_INTERRUPT)
.LBB3_229:
	s_wait_alu 0xfffe
	s_or_b32 exec_lo, exec_lo, s1
	s_branch .LBB3_233
.LBB3_230:                              ;   in Loop: Header=BB3_233 Depth=1
	s_wait_alu 0xfffe
	s_or_b32 exec_lo, exec_lo, s1
	s_delay_alu instid0(VALU_DEP_1)
	v_readfirstlane_b32 s1, v0
	s_cmp_eq_u32 s1, 0
	s_cbranch_scc1 .LBB3_232
; %bb.231:                              ;   in Loop: Header=BB3_233 Depth=1
	s_sleep 1
	s_cbranch_execnz .LBB3_233
	s_branch .LBB3_235
.LBB3_232:
	s_branch .LBB3_235
.LBB3_233:                              ; =>This Inner Loop Header: Depth=1
	v_mov_b32_e32 v0, 1
	s_and_saveexec_b32 s1, s0
	s_cbranch_execz .LBB3_230
; %bb.234:                              ;   in Loop: Header=BB3_233 Depth=1
	global_load_b32 v0, v[8:9], off offset:20 scope:SCOPE_SYS
	s_wait_loadcnt 0x0
	global_inv scope:SCOPE_SYS
	v_and_b32_e32 v0, 1, v0
	s_branch .LBB3_230
.LBB3_235:
	global_load_b64 v[2:3], v[6:7], off
	s_and_saveexec_b32 s6, s0
	s_cbranch_execz .LBB3_239
; %bb.236:
	v_mov_b32_e32 v8, 0
	s_clause 0x2
	global_load_b64 v[0:1], v8, s[2:3] offset:40
	global_load_b64 v[11:12], v8, s[2:3] offset:24 scope:SCOPE_SYS
	global_load_b64 v[4:5], v8, s[2:3]
	s_wait_loadcnt 0x2
	v_readfirstlane_b32 s10, v0
	v_readfirstlane_b32 s11, v1
	s_add_nc_u64 s[0:1], s[10:11], 1
	s_wait_alu 0xfffe
	s_add_nc_u64 s[4:5], s[0:1], s[4:5]
	s_wait_alu 0xfffe
	s_cmp_eq_u64 s[4:5], 0
	s_cselect_b32 s1, s1, s5
	s_cselect_b32 s0, s0, s4
	s_wait_alu 0xfffe
	v_mov_b32_e32 v10, s1
	s_and_b64 s[4:5], s[0:1], s[10:11]
	v_mov_b32_e32 v9, s0
	s_wait_alu 0xfffe
	s_mul_u64 s[4:5], s[4:5], 24
	s_wait_loadcnt 0x0
	s_wait_alu 0xfffe
	v_add_co_u32 v0, vcc_lo, v4, s4
	s_wait_alu 0xfffd
	v_add_co_ci_u32_e64 v1, null, s5, v5, vcc_lo
	global_store_b64 v[0:1], v[11:12], off
	global_wb scope:SCOPE_SYS
	s_wait_storecnt 0x0
	global_atomic_cmpswap_b64 v[6:7], v8, v[9:12], s[2:3] offset:24 th:TH_ATOMIC_RETURN scope:SCOPE_SYS
	s_wait_loadcnt 0x0
	v_cmp_ne_u64_e32 vcc_lo, v[6:7], v[11:12]
	s_and_b32 exec_lo, exec_lo, vcc_lo
	s_cbranch_execz .LBB3_239
; %bb.237:
	s_mov_b32 s4, 0
.LBB3_238:                              ; =>This Inner Loop Header: Depth=1
	v_dual_mov_b32 v4, s0 :: v_dual_mov_b32 v5, s1
	s_sleep 1
	global_store_b64 v[0:1], v[6:7], off
	global_wb scope:SCOPE_SYS
	s_wait_storecnt 0x0
	global_atomic_cmpswap_b64 v[4:5], v8, v[4:7], s[2:3] offset:24 th:TH_ATOMIC_RETURN scope:SCOPE_SYS
	s_wait_loadcnt 0x0
	v_cmp_eq_u64_e32 vcc_lo, v[4:5], v[6:7]
	v_dual_mov_b32 v7, v5 :: v_dual_mov_b32 v6, v4
	s_wait_alu 0xfffe
	s_or_b32 s4, vcc_lo, s4
	s_wait_alu 0xfffe
	s_and_not1_b32 exec_lo, exec_lo, s4
	s_cbranch_execnz .LBB3_238
.LBB3_239:
	s_wait_alu 0xfffe
	s_or_b32 exec_lo, exec_lo, s6
.LBB3_240:
	v_readfirstlane_b32 s0, v31
	s_wait_loadcnt 0x0
	v_mov_b32_e32 v0, 0
	v_mov_b32_e32 v1, 0
	s_wait_alu 0xf1ff
	v_cmp_eq_u32_e64 s0, s0, v31
	s_and_saveexec_b32 s1, s0
	s_cbranch_execz .LBB3_246
; %bb.241:
	v_mov_b32_e32 v4, 0
	s_mov_b32 s4, exec_lo
	global_load_b64 v[7:8], v4, s[2:3] offset:24 scope:SCOPE_SYS
	s_wait_loadcnt 0x0
	global_inv scope:SCOPE_SYS
	s_clause 0x1
	global_load_b64 v[0:1], v4, s[2:3] offset:40
	global_load_b64 v[5:6], v4, s[2:3]
	s_wait_loadcnt 0x1
	v_and_b32_e32 v1, v1, v8
	v_and_b32_e32 v0, v0, v7
	s_delay_alu instid0(VALU_DEP_2) | instskip(NEXT) | instid1(VALU_DEP_2)
	v_mul_lo_u32 v1, 24, v1
	v_mul_lo_u32 v9, 0, v0
	v_mul_hi_u32 v10, 24, v0
	v_mul_lo_u32 v0, 24, v0
	s_delay_alu instid0(VALU_DEP_3) | instskip(SKIP_1) | instid1(VALU_DEP_2)
	v_add_nc_u32_e32 v1, v1, v9
	s_wait_loadcnt 0x0
	v_add_co_u32 v0, vcc_lo, v5, v0
	s_delay_alu instid0(VALU_DEP_2) | instskip(SKIP_1) | instid1(VALU_DEP_1)
	v_add_nc_u32_e32 v1, v1, v10
	s_wait_alu 0xfffd
	v_add_co_ci_u32_e64 v1, null, v6, v1, vcc_lo
	global_load_b64 v[5:6], v[0:1], off scope:SCOPE_SYS
	s_wait_loadcnt 0x0
	global_atomic_cmpswap_b64 v[0:1], v4, v[5:8], s[2:3] offset:24 th:TH_ATOMIC_RETURN scope:SCOPE_SYS
	s_wait_loadcnt 0x0
	global_inv scope:SCOPE_SYS
	v_cmpx_ne_u64_e64 v[0:1], v[7:8]
	s_cbranch_execz .LBB3_245
; %bb.242:
	s_mov_b32 s5, 0
.LBB3_243:                              ; =>This Inner Loop Header: Depth=1
	s_sleep 1
	s_clause 0x1
	global_load_b64 v[5:6], v4, s[2:3] offset:40
	global_load_b64 v[9:10], v4, s[2:3]
	v_dual_mov_b32 v8, v1 :: v_dual_mov_b32 v7, v0
	s_wait_loadcnt 0x1
	s_delay_alu instid0(VALU_DEP_1) | instskip(NEXT) | instid1(VALU_DEP_2)
	v_and_b32_e32 v0, v5, v7
	v_and_b32_e32 v5, v6, v8
	s_wait_loadcnt 0x0
	s_delay_alu instid0(VALU_DEP_2) | instskip(NEXT) | instid1(VALU_DEP_1)
	v_mad_co_u64_u32 v[0:1], null, v0, 24, v[9:10]
	v_mad_co_u64_u32 v[5:6], null, v5, 24, v[1:2]
	s_delay_alu instid0(VALU_DEP_1)
	v_mov_b32_e32 v1, v5
	global_load_b64 v[5:6], v[0:1], off scope:SCOPE_SYS
	s_wait_loadcnt 0x0
	global_atomic_cmpswap_b64 v[0:1], v4, v[5:8], s[2:3] offset:24 th:TH_ATOMIC_RETURN scope:SCOPE_SYS
	s_wait_loadcnt 0x0
	global_inv scope:SCOPE_SYS
	v_cmp_eq_u64_e32 vcc_lo, v[0:1], v[7:8]
	s_wait_alu 0xfffe
	s_or_b32 s5, vcc_lo, s5
	s_wait_alu 0xfffe
	s_and_not1_b32 exec_lo, exec_lo, s5
	s_cbranch_execnz .LBB3_243
; %bb.244:
	s_or_b32 exec_lo, exec_lo, s5
.LBB3_245:
	s_wait_alu 0xfffe
	s_or_b32 exec_lo, exec_lo, s4
.LBB3_246:
	s_wait_alu 0xfffe
	s_or_b32 exec_lo, exec_lo, s1
	v_readfirstlane_b32 s4, v0
	v_mov_b32_e32 v5, 0
	v_readfirstlane_b32 s5, v1
	s_mov_b32 s1, exec_lo
	s_clause 0x1
	global_load_b64 v[10:11], v5, s[2:3] offset:40
	global_load_b128 v[6:9], v5, s[2:3]
	s_wait_loadcnt 0x1
	s_wait_alu 0xf1ff
	v_and_b32_e32 v1, s5, v11
	v_and_b32_e32 v0, s4, v10
	s_delay_alu instid0(VALU_DEP_2) | instskip(NEXT) | instid1(VALU_DEP_2)
	v_mul_lo_u32 v4, 24, v1
	v_mul_lo_u32 v10, 0, v0
	v_mul_hi_u32 v11, 24, v0
	v_mul_lo_u32 v12, 24, v0
	s_delay_alu instid0(VALU_DEP_3) | instskip(SKIP_1) | instid1(VALU_DEP_2)
	v_add_nc_u32_e32 v4, v4, v10
	s_wait_loadcnt 0x0
	v_add_co_u32 v10, vcc_lo, v6, v12
	s_delay_alu instid0(VALU_DEP_2) | instskip(SKIP_1) | instid1(VALU_DEP_1)
	v_add_nc_u32_e32 v4, v4, v11
	s_wait_alu 0xfffd
	v_add_co_ci_u32_e64 v11, null, v7, v4, vcc_lo
	s_and_saveexec_b32 s6, s0
	s_cbranch_execz .LBB3_248
; %bb.247:
	s_wait_alu 0xfffe
	v_dual_mov_b32 v4, s1 :: v_dual_mov_b32 v15, 1
	v_dual_mov_b32 v14, 2 :: v_dual_mov_b32 v13, v5
	s_delay_alu instid0(VALU_DEP_2)
	v_mov_b32_e32 v12, v4
	global_store_b128 v[10:11], v[12:15], off offset:8
.LBB3_248:
	s_wait_alu 0xfffe
	s_or_b32 exec_lo, exec_lo, s6
	v_lshlrev_b64_e32 v[0:1], 12, v[0:1]
	s_mov_b32 s12, 0
	v_and_or_b32 v2, 0xffffff1f, v2, 32
	s_wait_alu 0xfffe
	s_mov_b32 s13, s12
	s_mov_b32 s14, s12
	;; [unrolled: 1-line block ×3, first 2 shown]
	v_add_co_u32 v0, vcc_lo, v8, v0
	s_wait_alu 0xfffd
	v_add_co_ci_u32_e64 v1, null, v9, v1, vcc_lo
	v_mov_b32_e32 v4, 0xa8
	s_delay_alu instid0(VALU_DEP_3) | instskip(SKIP_1) | instid1(VALU_DEP_4)
	v_add_co_u32 v8, vcc_lo, v0, v30
	v_readfirstlane_b32 s6, v0
	v_readfirstlane_b32 s7, v1
	s_wait_alu 0xfffe
	v_dual_mov_b32 v12, s12 :: v_dual_mov_b32 v15, s15
	s_wait_alu 0xfffd
	v_add_co_ci_u32_e64 v9, null, 0, v1, vcc_lo
	v_dual_mov_b32 v13, s13 :: v_dual_mov_b32 v14, s14
	s_clause 0x3
	global_store_b128 v30, v[2:5], s[6:7]
	global_store_b128 v30, v[12:15], s[6:7] offset:16
	global_store_b128 v30, v[12:15], s[6:7] offset:32
	;; [unrolled: 1-line block ×3, first 2 shown]
	s_and_saveexec_b32 s1, s0
	s_cbranch_execz .LBB3_256
; %bb.249:
	v_mov_b32_e32 v12, 0
	s_mov_b32 s6, exec_lo
	s_clause 0x1
	global_load_b64 v[15:16], v12, s[2:3] offset:32 scope:SCOPE_SYS
	global_load_b64 v[0:1], v12, s[2:3] offset:40
	v_dual_mov_b32 v13, s4 :: v_dual_mov_b32 v14, s5
	s_wait_loadcnt 0x0
	v_and_b32_e32 v1, s5, v1
	v_and_b32_e32 v0, s4, v0
	s_delay_alu instid0(VALU_DEP_2) | instskip(NEXT) | instid1(VALU_DEP_2)
	v_mul_lo_u32 v1, 24, v1
	v_mul_lo_u32 v2, 0, v0
	v_mul_hi_u32 v3, 24, v0
	v_mul_lo_u32 v0, 24, v0
	s_delay_alu instid0(VALU_DEP_3) | instskip(NEXT) | instid1(VALU_DEP_2)
	v_add_nc_u32_e32 v1, v1, v2
	v_add_co_u32 v4, vcc_lo, v6, v0
	s_delay_alu instid0(VALU_DEP_2) | instskip(SKIP_1) | instid1(VALU_DEP_1)
	v_add_nc_u32_e32 v1, v1, v3
	s_wait_alu 0xfffd
	v_add_co_ci_u32_e64 v5, null, v7, v1, vcc_lo
	global_store_b64 v[4:5], v[15:16], off
	global_wb scope:SCOPE_SYS
	s_wait_storecnt 0x0
	global_atomic_cmpswap_b64 v[2:3], v12, v[13:16], s[2:3] offset:32 th:TH_ATOMIC_RETURN scope:SCOPE_SYS
	s_wait_loadcnt 0x0
	v_cmpx_ne_u64_e64 v[2:3], v[15:16]
	s_cbranch_execz .LBB3_252
; %bb.250:
	s_mov_b32 s7, 0
.LBB3_251:                              ; =>This Inner Loop Header: Depth=1
	v_dual_mov_b32 v0, s4 :: v_dual_mov_b32 v1, s5
	s_sleep 1
	global_store_b64 v[4:5], v[2:3], off
	global_wb scope:SCOPE_SYS
	s_wait_storecnt 0x0
	global_atomic_cmpswap_b64 v[0:1], v12, v[0:3], s[2:3] offset:32 th:TH_ATOMIC_RETURN scope:SCOPE_SYS
	s_wait_loadcnt 0x0
	v_cmp_eq_u64_e32 vcc_lo, v[0:1], v[2:3]
	v_dual_mov_b32 v3, v1 :: v_dual_mov_b32 v2, v0
	s_wait_alu 0xfffe
	s_or_b32 s7, vcc_lo, s7
	s_wait_alu 0xfffe
	s_and_not1_b32 exec_lo, exec_lo, s7
	s_cbranch_execnz .LBB3_251
.LBB3_252:
	s_wait_alu 0xfffe
	s_or_b32 exec_lo, exec_lo, s6
	v_mov_b32_e32 v3, 0
	s_mov_b32 s7, exec_lo
	s_mov_b32 s6, exec_lo
	s_wait_alu 0xfffe
	v_mbcnt_lo_u32_b32 v2, s7, 0
	global_load_b64 v[0:1], v3, s[2:3] offset:16
	v_cmpx_eq_u32_e32 0, v2
	s_cbranch_execz .LBB3_254
; %bb.253:
	s_bcnt1_i32_b32 s7, s7
	s_wait_alu 0xfffe
	v_mov_b32_e32 v2, s7
	global_wb scope:SCOPE_SYS
	s_wait_loadcnt 0x0
	s_wait_storecnt 0x0
	global_atomic_add_u64 v[0:1], v[2:3], off offset:8 scope:SCOPE_SYS
.LBB3_254:
	s_or_b32 exec_lo, exec_lo, s6
	s_wait_loadcnt 0x0
	global_load_b64 v[2:3], v[0:1], off offset:16
	s_wait_loadcnt 0x0
	v_cmp_eq_u64_e32 vcc_lo, 0, v[2:3]
	s_cbranch_vccnz .LBB3_256
; %bb.255:
	global_load_b32 v0, v[0:1], off offset:24
	v_mov_b32_e32 v1, 0
	s_wait_loadcnt 0x0
	v_readfirstlane_b32 s6, v0
	global_wb scope:SCOPE_SYS
	s_wait_storecnt 0x0
	global_store_b64 v[2:3], v[0:1], off scope:SCOPE_SYS
	s_and_b32 m0, s6, 0xffffff
	s_sendmsg sendmsg(MSG_INTERRUPT)
.LBB3_256:
	s_wait_alu 0xfffe
	s_or_b32 exec_lo, exec_lo, s1
	s_branch .LBB3_260
.LBB3_257:                              ;   in Loop: Header=BB3_260 Depth=1
	s_wait_alu 0xfffe
	s_or_b32 exec_lo, exec_lo, s1
	s_delay_alu instid0(VALU_DEP_1)
	v_readfirstlane_b32 s1, v0
	s_cmp_eq_u32 s1, 0
	s_cbranch_scc1 .LBB3_259
; %bb.258:                              ;   in Loop: Header=BB3_260 Depth=1
	s_sleep 1
	s_cbranch_execnz .LBB3_260
	s_branch .LBB3_262
.LBB3_259:
	s_branch .LBB3_262
.LBB3_260:                              ; =>This Inner Loop Header: Depth=1
	v_mov_b32_e32 v0, 1
	s_and_saveexec_b32 s1, s0
	s_cbranch_execz .LBB3_257
; %bb.261:                              ;   in Loop: Header=BB3_260 Depth=1
	global_load_b32 v0, v[10:11], off offset:20 scope:SCOPE_SYS
	s_wait_loadcnt 0x0
	global_inv scope:SCOPE_SYS
	v_and_b32_e32 v0, 1, v0
	s_branch .LBB3_257
.LBB3_262:
	global_load_b64 v[0:1], v[8:9], off
	s_and_saveexec_b32 s6, s0
	s_cbranch_execz .LBB3_266
; %bb.263:
	v_mov_b32_e32 v8, 0
	s_clause 0x2
	global_load_b64 v[2:3], v8, s[2:3] offset:40
	global_load_b64 v[11:12], v8, s[2:3] offset:24 scope:SCOPE_SYS
	global_load_b64 v[4:5], v8, s[2:3]
	s_wait_loadcnt 0x2
	v_readfirstlane_b32 s10, v2
	v_readfirstlane_b32 s11, v3
	s_add_nc_u64 s[0:1], s[10:11], 1
	s_wait_alu 0xfffe
	s_add_nc_u64 s[4:5], s[0:1], s[4:5]
	s_wait_alu 0xfffe
	s_cmp_eq_u64 s[4:5], 0
	s_cselect_b32 s1, s1, s5
	s_cselect_b32 s0, s0, s4
	s_wait_alu 0xfffe
	v_mov_b32_e32 v10, s1
	s_and_b64 s[4:5], s[0:1], s[10:11]
	v_mov_b32_e32 v9, s0
	s_wait_alu 0xfffe
	s_mul_u64 s[4:5], s[4:5], 24
	s_wait_loadcnt 0x0
	s_wait_alu 0xfffe
	v_add_co_u32 v6, vcc_lo, v4, s4
	s_wait_alu 0xfffd
	v_add_co_ci_u32_e64 v7, null, s5, v5, vcc_lo
	global_store_b64 v[6:7], v[11:12], off
	global_wb scope:SCOPE_SYS
	s_wait_storecnt 0x0
	global_atomic_cmpswap_b64 v[4:5], v8, v[9:12], s[2:3] offset:24 th:TH_ATOMIC_RETURN scope:SCOPE_SYS
	s_wait_loadcnt 0x0
	v_cmp_ne_u64_e32 vcc_lo, v[4:5], v[11:12]
	s_and_b32 exec_lo, exec_lo, vcc_lo
	s_cbranch_execz .LBB3_266
; %bb.264:
	s_mov_b32 s4, 0
.LBB3_265:                              ; =>This Inner Loop Header: Depth=1
	v_dual_mov_b32 v2, s0 :: v_dual_mov_b32 v3, s1
	s_sleep 1
	global_store_b64 v[6:7], v[4:5], off
	global_wb scope:SCOPE_SYS
	s_wait_storecnt 0x0
	global_atomic_cmpswap_b64 v[2:3], v8, v[2:5], s[2:3] offset:24 th:TH_ATOMIC_RETURN scope:SCOPE_SYS
	s_wait_loadcnt 0x0
	v_cmp_eq_u64_e32 vcc_lo, v[2:3], v[4:5]
	v_dual_mov_b32 v5, v3 :: v_dual_mov_b32 v4, v2
	s_wait_alu 0xfffe
	s_or_b32 s4, vcc_lo, s4
	s_wait_alu 0xfffe
	s_and_not1_b32 exec_lo, exec_lo, s4
	s_cbranch_execnz .LBB3_265
.LBB3_266:
	s_wait_alu 0xfffe
	s_or_b32 exec_lo, exec_lo, s6
	s_getpc_b64 s[0:1]
	s_wait_alu 0xfffe
	s_sext_i32_i16 s1, s1
	s_add_co_u32 s0, s0, __FUNCTION__._ZL18quantize_mmq_nvfp4PKfPKiPvlllllll@rel32@lo+12
	s_wait_alu 0xfffe
	s_add_co_ci_u32 s1, s1, __FUNCTION__._ZL18quantize_mmq_nvfp4PKfPKiPvlllllll@rel32@hi+24
	s_wait_alu 0xfffe
	v_dual_mov_b32 v2, s0 :: v_dual_mov_b32 v3, s1
	s_cmp_lg_u64 s[0:1], 0
	s_mov_b64 s[14:15], s[8:9]
	s_cselect_b32 s4, 19, 0
	s_wait_alu 0xfffe
	v_dual_mov_b32 v5, 0 :: v_dual_mov_b32 v4, s4
	s_getpc_b64 s[2:3]
	s_wait_alu 0xfffe
	s_sext_i32_i16 s3, s3
	s_add_co_u32 s2, s2, __ockl_printf_append_string_n@rel32@lo+12
	s_wait_alu 0xfffe
	s_add_co_ci_u32 s3, s3, __ockl_printf_append_string_n@rel32@hi+24
	s_wait_alu 0xfffe
	s_swappc_b64 s[30:31], s[2:3]
	v_dual_mov_b32 v2, 0x514 :: v_dual_mov_b32 v3, 0
	v_mov_b32_e32 v4, 1
	s_getpc_b64 s[0:1]
	s_wait_alu 0xfffe
	s_sext_i32_i16 s1, s1
	s_add_co_u32 s0, s0, __ockl_printf_append_args@rel32@lo+12
	s_wait_alu 0xfffe
	s_add_co_ci_u32 s1, s1, __ockl_printf_append_args@rel32@hi+24
	s_mov_b64 s[8:9], s[14:15]
	s_wait_alu 0xfffe
	s_swappc_b64 s[30:31], s[0:1]
	s_trap 2
.Lfunc_end3:
	.size	_ZL14no_device_codePKciS0_iS0_, .Lfunc_end3-_ZL14no_device_codePKciS0_iS0_
                                        ; -- End function
	.set .L_ZL14no_device_codePKciS0_iS0_.num_vgpr, max(40, .L__ockl_printf_append_string_n.num_vgpr, .L__ockl_printf_append_args.num_vgpr)
	.set .L_ZL14no_device_codePKciS0_iS0_.num_agpr, max(0, .L__ockl_printf_append_string_n.num_agpr, .L__ockl_printf_append_args.num_agpr)
	.set .L_ZL14no_device_codePKciS0_iS0_.numbered_sgpr, max(34, .L__ockl_printf_append_string_n.numbered_sgpr, .L__ockl_printf_append_args.numbered_sgpr)
	.set .L_ZL14no_device_codePKciS0_iS0_.num_named_barrier, max(0, .L__ockl_printf_append_string_n.num_named_barrier, .L__ockl_printf_append_args.num_named_barrier)
	.set .L_ZL14no_device_codePKciS0_iS0_.private_seg_size, 16+max(.L__ockl_printf_append_string_n.private_seg_size, .L__ockl_printf_append_args.private_seg_size)
	.set .L_ZL14no_device_codePKciS0_iS0_.uses_vcc, or(1, .L__ockl_printf_append_string_n.uses_vcc, .L__ockl_printf_append_args.uses_vcc)
	.set .L_ZL14no_device_codePKciS0_iS0_.uses_flat_scratch, or(0, .L__ockl_printf_append_string_n.uses_flat_scratch, .L__ockl_printf_append_args.uses_flat_scratch)
	.set .L_ZL14no_device_codePKciS0_iS0_.has_dyn_sized_stack, or(0, .L__ockl_printf_append_string_n.has_dyn_sized_stack, .L__ockl_printf_append_args.has_dyn_sized_stack)
	.set .L_ZL14no_device_codePKciS0_iS0_.has_recursion, or(0, .L__ockl_printf_append_string_n.has_recursion, .L__ockl_printf_append_args.has_recursion)
	.set .L_ZL14no_device_codePKciS0_iS0_.has_indirect_call, or(0, .L__ockl_printf_append_string_n.has_indirect_call, .L__ockl_printf_append_args.has_indirect_call)
	.section	.AMDGPU.csdata,"",@progbits
; Function info:
; codeLenInByte = 12540
; TotalNumSgprs: 36
; NumVgprs: 40
; ScratchSize: 16
; MemoryBound: 0
	.section	.text._ZL18quantize_mmq_nvfp4PKfPKiPvlllllll,"axG",@progbits,_ZL18quantize_mmq_nvfp4PKfPKiPvlllllll,comdat
	.globl	_ZL18quantize_mmq_nvfp4PKfPKiPvlllllll ; -- Begin function _ZL18quantize_mmq_nvfp4PKfPKiPvlllllll
	.p2align	8
	.type	_ZL18quantize_mmq_nvfp4PKfPKiPvlllllll,@function
_ZL18quantize_mmq_nvfp4PKfPKiPvlllllll: ; @_ZL18quantize_mmq_nvfp4PKfPKiPvlllllll
; %bb.0:
	s_getpc_b64 s[2:3]
	s_sext_i32_i16 s3, s3
	s_add_co_u32 s2, s2, _ZL14no_device_codePKciS0_iS0_@rel32@lo+8
	s_add_co_ci_u32 s3, s3, _ZL14no_device_codePKciS0_iS0_@rel32@hi+16
	s_add_nc_u64 s[8:9], s[0:1], 0x50
	s_mov_b32 s32, 0
	s_swappc_b64 s[30:31], s[2:3]
	.section	.rodata,"a",@progbits
	.p2align	6, 0x0
	.amdhsa_kernel _ZL18quantize_mmq_nvfp4PKfPKiPvlllllll
		.amdhsa_group_segment_fixed_size 0
		.amdhsa_private_segment_fixed_size 16
		.amdhsa_kernarg_size 336
		.amdhsa_user_sgpr_count 2
		.amdhsa_user_sgpr_dispatch_ptr 0
		.amdhsa_user_sgpr_queue_ptr 0
		.amdhsa_user_sgpr_kernarg_segment_ptr 1
		.amdhsa_user_sgpr_dispatch_id 0
		.amdhsa_user_sgpr_private_segment_size 0
		.amdhsa_wavefront_size32 1
		.amdhsa_uses_dynamic_stack 0
		.amdhsa_enable_private_segment 1
		.amdhsa_system_sgpr_workgroup_id_x 1
		.amdhsa_system_sgpr_workgroup_id_y 0
		.amdhsa_system_sgpr_workgroup_id_z 0
		.amdhsa_system_sgpr_workgroup_info 0
		.amdhsa_system_vgpr_workitem_id 0
		.amdhsa_next_free_vgpr 40
		.amdhsa_next_free_sgpr 34
		.amdhsa_reserve_vcc 1
		.amdhsa_float_round_mode_32 0
		.amdhsa_float_round_mode_16_64 0
		.amdhsa_float_denorm_mode_32 3
		.amdhsa_float_denorm_mode_16_64 3
		.amdhsa_fp16_overflow 0
		.amdhsa_workgroup_processor_mode 1
		.amdhsa_memory_ordered 1
		.amdhsa_forward_progress 1
		.amdhsa_inst_pref_size 1
		.amdhsa_round_robin_scheduling 0
		.amdhsa_exception_fp_ieee_invalid_op 0
		.amdhsa_exception_fp_denorm_src 0
		.amdhsa_exception_fp_ieee_div_zero 0
		.amdhsa_exception_fp_ieee_overflow 0
		.amdhsa_exception_fp_ieee_underflow 0
		.amdhsa_exception_fp_ieee_inexact 0
		.amdhsa_exception_int_div_zero 0
	.end_amdhsa_kernel
	.section	.text._ZL18quantize_mmq_nvfp4PKfPKiPvlllllll,"axG",@progbits,_ZL18quantize_mmq_nvfp4PKfPKiPvlllllll,comdat
.Lfunc_end4:
	.size	_ZL18quantize_mmq_nvfp4PKfPKiPvlllllll, .Lfunc_end4-_ZL18quantize_mmq_nvfp4PKfPKiPvlllllll
                                        ; -- End function
	.set _ZL18quantize_mmq_nvfp4PKfPKiPvlllllll.num_vgpr, max(0, .L_ZL14no_device_codePKciS0_iS0_.num_vgpr)
	.set _ZL18quantize_mmq_nvfp4PKfPKiPvlllllll.num_agpr, max(0, .L_ZL14no_device_codePKciS0_iS0_.num_agpr)
	.set _ZL18quantize_mmq_nvfp4PKfPKiPvlllllll.numbered_sgpr, max(33, .L_ZL14no_device_codePKciS0_iS0_.numbered_sgpr)
	.set _ZL18quantize_mmq_nvfp4PKfPKiPvlllllll.num_named_barrier, max(0, .L_ZL14no_device_codePKciS0_iS0_.num_named_barrier)
	.set _ZL18quantize_mmq_nvfp4PKfPKiPvlllllll.private_seg_size, 0+max(.L_ZL14no_device_codePKciS0_iS0_.private_seg_size)
	.set _ZL18quantize_mmq_nvfp4PKfPKiPvlllllll.uses_vcc, or(1, .L_ZL14no_device_codePKciS0_iS0_.uses_vcc)
	.set _ZL18quantize_mmq_nvfp4PKfPKiPvlllllll.uses_flat_scratch, or(0, .L_ZL14no_device_codePKciS0_iS0_.uses_flat_scratch)
	.set _ZL18quantize_mmq_nvfp4PKfPKiPvlllllll.has_dyn_sized_stack, or(0, .L_ZL14no_device_codePKciS0_iS0_.has_dyn_sized_stack)
	.set _ZL18quantize_mmq_nvfp4PKfPKiPvlllllll.has_recursion, or(0, .L_ZL14no_device_codePKciS0_iS0_.has_recursion)
	.set _ZL18quantize_mmq_nvfp4PKfPKiPvlllllll.has_indirect_call, or(0, .L_ZL14no_device_codePKciS0_iS0_.has_indirect_call)
	.section	.AMDGPU.csdata,"",@progbits
; Kernel info:
; codeLenInByte = 40
; TotalNumSgprs: 36
; NumVgprs: 40
; ScratchSize: 16
; MemoryBound: 0
; FloatMode: 240
; IeeeMode: 1
; LDSByteSize: 0 bytes/workgroup (compile time only)
; SGPRBlocks: 0
; VGPRBlocks: 4
; NumSGPRsForWavesPerEU: 36
; NumVGPRsForWavesPerEU: 40
; Occupancy: 16
; WaveLimiterHint : 1
; COMPUTE_PGM_RSRC2:SCRATCH_EN: 1
; COMPUTE_PGM_RSRC2:USER_SGPR: 2
; COMPUTE_PGM_RSRC2:TRAP_HANDLER: 0
; COMPUTE_PGM_RSRC2:TGID_X_EN: 1
; COMPUTE_PGM_RSRC2:TGID_Y_EN: 0
; COMPUTE_PGM_RSRC2:TGID_Z_EN: 0
; COMPUTE_PGM_RSRC2:TIDIG_COMP_CNT: 0
	.section	.text._ZL18quantize_mmq_mxfp4PKfPKiPvlllllii,"axG",@progbits,_ZL18quantize_mmq_mxfp4PKfPKiPvlllllii,comdat
	.globl	_ZL18quantize_mmq_mxfp4PKfPKiPvlllllii ; -- Begin function _ZL18quantize_mmq_mxfp4PKfPKiPvlllllii
	.p2align	8
	.type	_ZL18quantize_mmq_mxfp4PKfPKiPvlllllii,@function
_ZL18quantize_mmq_mxfp4PKfPKiPvlllllii: ; @_ZL18quantize_mmq_mxfp4PKfPKiPvlllllii
; %bb.0:
	s_clause 0x1
	s_load_u16 s2, s[0:1], 0x56
	s_load_b64 s[16:17], s[0:1], 0x38
	v_bfe_u32 v1, v0, 10, 10
	s_and_b32 s3, ttmp7, 0xffff
	v_mov_b32_e32 v2, 0
	s_wait_kmcnt 0x0
	s_mul_i32 s3, s3, s2
	s_mov_b32 s2, exec_lo
	v_add_lshl_u32 v1, s3, v1, 6
	s_delay_alu instid0(VALU_DEP_1)
	v_cmpx_gt_i64_e64 s[16:17], v[1:2]
	s_cbranch_execz .LBB5_21
; %bb.1:
	s_clause 0x2
	s_load_b64 s[18:19], s[0:1], 0x40
	s_load_b128 s[12:15], s[0:1], 0x0
	s_load_b256 s[4:11], s[0:1], 0x18
	s_mov_b32 s2, ttmp9
	s_wait_kmcnt 0x0
	s_cvt_f32_u32 s3, s19
	s_sub_co_i32 s20, 0, s19
	s_wait_alu 0xfffe
	s_delay_alu instid0(SALU_CYCLE_1) | instskip(NEXT) | instid1(TRANS32_DEP_1)
	v_rcp_iflag_f32_e32 v2, s3
	v_readfirstlane_b32 s3, v2
	s_mul_f32 s3, s3, 0x4f7ffffe
	s_wait_alu 0xfffe
	s_delay_alu instid0(SALU_CYCLE_2) | instskip(SKIP_1) | instid1(SALU_CYCLE_2)
	s_cvt_u32_f32 s22, s3
	s_mov_b32 s3, 0
	s_mul_i32 s21, s20, s22
	s_lshr_b32 s20, ttmp7, 16
	s_mul_hi_u32 s23, s22, s21
	s_wait_alu 0xfffe
	s_mov_b32 s21, s3
	s_add_co_i32 s22, s22, s23
	s_mov_b32 s23, s3
	s_cmp_eq_u64 s[14:15], 0
	s_mul_u64 s[24:25], s[20:21], s[22:23]
	s_mov_b64 s[22:23], s[2:3]
	s_cbranch_scc1 .LBB5_3
; %bb.2:
	s_lshl_b64 s[22:23], s[2:3], 2
	s_delay_alu instid0(SALU_CYCLE_1)
	s_add_nc_u64 s[14:15], s[14:15], s[22:23]
	s_load_b32 s22, s[14:15], 0x0
	s_wait_kmcnt 0x0
	s_ashr_i32 s23, s22, 31
.LBB5_3:
	s_mul_i32 s14, s25, s19
	s_add_co_i32 s24, s25, 1
	s_sub_co_i32 s14, s20, s14
	s_mov_b32 s15, s3
	s_sub_co_i32 s26, s14, s19
	s_cmp_ge_u32 s14, s19
	s_mov_b32 s27, s3
	s_cselect_b32 s3, s24, s25
	s_cselect_b32 s14, s26, s14
	s_wait_alu 0xfffe
	s_add_co_i32 s24, s3, 1
	s_cmp_ge_u32 s14, s19
	v_and_b32_e32 v0, 0x3ff, v0
	s_cselect_b32 s26, s24, s3
	s_mul_u64 s[6:7], s[22:23], s[6:7]
	s_mul_i32 s3, s26, s19
	s_mul_u64 s[10:11], s[10:11], s[26:27]
	s_wait_alu 0xfffe
	s_sub_co_i32 s14, s20, s3
	v_add_co_u32 v2, s3, v1, v0
	s_wait_alu 0xf1ff
	v_add_co_ci_u32_e64 v3, null, 0, 0, s3
	s_lshl_b64 s[10:11], s[10:11], 2
	s_mul_u64 s[8:9], s[8:9], s[14:15]
	s_add_nc_u64 s[10:11], s[12:13], s[10:11]
	s_lshl_b64 s[8:9], s[8:9], 2
	v_cmp_gt_i64_e32 vcc_lo, s[4:5], v[2:3]
	v_lshlrev_b64_e32 v[2:3], 2, v[2:3]
	v_mov_b32_e32 v6, 0
	v_mov_b32_e32 v4, 0
	s_add_nc_u64 s[8:9], s[10:11], s[8:9]
	s_lshl_b64 s[6:7], s[6:7], 2
	s_delay_alu instid0(SALU_CYCLE_1)
	s_add_nc_u64 s[6:7], s[8:9], s[6:7]
	s_and_saveexec_b32 s3, vcc_lo
	s_cbranch_execz .LBB5_5
; %bb.4:
	v_add_co_u32 v4, vcc_lo, s6, v2
	s_delay_alu instid0(VALU_DEP_1)
	v_add_co_ci_u32_e64 v5, null, s7, v3, vcc_lo
	global_load_b32 v4, v[4:5], off
.LBB5_5:
	s_wait_alu 0xfffe
	s_or_b32 exec_lo, exec_lo, s3
	v_mbcnt_lo_u32_b32 v5, -1, 0
	s_wait_loadcnt 0x0
	v_max_num_f32_e64 v10, |v4|, |v4|
	s_mov_b32 s3, exec_lo
	v_and_b32_e32 v8, 0x7fffffff, v4
	v_xor_b32_e32 v7, 16, v5
	v_xor_b32_e32 v9, 8, v5
	s_delay_alu instid0(VALU_DEP_2) | instskip(SKIP_2) | instid1(VALU_DEP_3)
	v_cmp_gt_i32_e32 vcc_lo, 32, v7
	s_wait_alu 0xfffd
	v_cndmask_b32_e32 v7, v5, v7, vcc_lo
	v_cmp_gt_i32_e32 vcc_lo, 32, v9
	s_delay_alu instid0(VALU_DEP_2) | instskip(SKIP_4) | instid1(VALU_DEP_1)
	v_lshlrev_b32_e32 v7, 2, v7
	ds_bpermute_b32 v8, v7, v8
	s_wait_dscnt 0x0
	v_max_num_f32_e32 v11, v8, v8
	s_wait_alu 0xfffd
	v_dual_cndmask_b32 v9, v5, v9 :: v_dual_max_num_f32 v10, v10, v11
	s_delay_alu instid0(VALU_DEP_1)
	v_lshlrev_b32_e32 v8, 2, v9
	v_xor_b32_e32 v11, 4, v5
	ds_bpermute_b32 v9, v8, v10
	v_cmp_gt_i32_e32 vcc_lo, 32, v11
	s_wait_alu 0xfffd
	v_cndmask_b32_e32 v11, v5, v11, vcc_lo
	s_wait_dscnt 0x0
	s_delay_alu instid0(VALU_DEP_1) | instskip(NEXT) | instid1(VALU_DEP_1)
	v_dual_max_num_f32 v12, v9, v9 :: v_dual_lshlrev_b32 v9, 2, v11
	v_max_num_f32_e32 v11, v10, v12
	v_xor_b32_e32 v12, 2, v5
	s_delay_alu instid0(VALU_DEP_1)
	v_cmp_gt_i32_e32 vcc_lo, 32, v12
	s_wait_alu 0xfffd
	v_cndmask_b32_e32 v12, v5, v12, vcc_lo
	ds_bpermute_b32 v10, v9, v11
	s_wait_dscnt 0x0
	v_dual_max_num_f32 v13, v10, v10 :: v_dual_lshlrev_b32 v10, 2, v12
	s_delay_alu instid0(VALU_DEP_1)
	v_max_num_f32_e32 v11, v11, v13
	v_xor_b32_e32 v13, 1, v5
	ds_bpermute_b32 v12, v10, v11
	v_cmp_gt_i32_e32 vcc_lo, 32, v13
	s_wait_dscnt 0x0
	s_wait_alu 0xfffd
	v_dual_max_num_f32 v12, v12, v12 :: v_dual_cndmask_b32 v5, v5, v13
	s_delay_alu instid0(VALU_DEP_1) | instskip(SKIP_3) | instid1(VALU_DEP_1)
	v_dual_max_num_f32 v12, v11, v12 :: v_dual_lshlrev_b32 v11, 2, v5
	ds_bpermute_b32 v5, v11, v12
	s_wait_dscnt 0x0
	v_max_num_f32_e32 v5, v5, v5
	v_max_num_f32_e32 v12, v12, v5
	s_delay_alu instid0(VALU_DEP_1)
	v_cmpx_lt_f32_e32 0, v12
	s_cbranch_execz .LBB5_7
; %bb.6:
	v_cmp_gt_f32_e32 vcc_lo, 0x800000, v12
	s_wait_alu 0xfffd
	v_cndmask_b32_e64 v6, 0, 32, vcc_lo
	v_cndmask_b32_e64 v5, 0, 0x42000000, vcc_lo
	s_delay_alu instid0(VALU_DEP_2) | instskip(NEXT) | instid1(VALU_DEP_1)
	v_ldexp_f32 v6, v12, v6
	v_log_f32_e32 v6, v6
	s_delay_alu instid0(TRANS32_DEP_1) | instskip(NEXT) | instid1(VALU_DEP_1)
	v_sub_f32_e32 v5, v6, v5
	v_rndne_f32_e32 v5, v5
	s_delay_alu instid0(VALU_DEP_1) | instskip(NEXT) | instid1(VALU_DEP_1)
	v_cvt_i32_f32_e32 v5, v5
	v_max_i32_e32 v5, 0xffffff83, v5
	s_delay_alu instid0(VALU_DEP_1) | instskip(NEXT) | instid1(VALU_DEP_1)
	v_add_nc_u32_e32 v5, 0x7d, v5
	v_min_u32_e32 v6, 0xfe, v5
.LBB5_7:
	s_wait_alu 0xfffe
	s_or_b32 exec_lo, exec_lo, s3
	s_load_b64 s[0:1], s[0:1], 0x10
	v_mov_b32_e32 v5, 0
	s_mov_b32 s3, exec_lo
	v_cmpx_neq_f32_e32 0, v12
	s_cbranch_execz .LBB5_9
; %bb.8:
	v_lshlrev_b32_e32 v5, 23, v6
	s_delay_alu instid0(VALU_DEP_1) | instskip(NEXT) | instid1(VALU_DEP_1)
	v_div_scale_f32 v12, null, v5, v5, 1.0
	v_rcp_f32_e32 v13, v12
	s_delay_alu instid0(TRANS32_DEP_1) | instskip(NEXT) | instid1(VALU_DEP_1)
	v_fma_f32 v14, -v12, v13, 1.0
	v_fmac_f32_e32 v13, v14, v13
	v_div_scale_f32 v14, vcc_lo, 1.0, v5, 1.0
	s_delay_alu instid0(VALU_DEP_1) | instskip(NEXT) | instid1(VALU_DEP_1)
	v_mul_f32_e32 v15, v14, v13
	v_fma_f32 v16, -v12, v15, v14
	s_delay_alu instid0(VALU_DEP_1) | instskip(NEXT) | instid1(VALU_DEP_1)
	v_fmac_f32_e32 v15, v16, v13
	v_fma_f32 v12, -v12, v15, v14
	s_wait_alu 0xfffd
	s_delay_alu instid0(VALU_DEP_1) | instskip(SKIP_1) | instid1(VALU_DEP_2)
	v_div_fmas_f32 v12, v12, v13, v15
	v_cmp_ne_u16_e32 vcc_lo, 0, v6
	v_div_fixup_f32 v5, v12, v5, 1.0
	s_wait_alu 0xfffd
	s_delay_alu instid0(VALU_DEP_1)
	v_cndmask_b32_e32 v5, 0x7f000000, v5, vcc_lo
.LBB5_9:
	s_wait_alu 0xfffe
	s_or_b32 exec_lo, exec_lo, s3
	s_delay_alu instid0(VALU_DEP_1)
	v_mul_f32_e64 v12, |v4|, v5
	v_fma_f32 v13, |v4|, v5, -0.5
	v_fma_f32 v14, |v4|, v5, -1.0
	v_fma_f32 v16, |v4|, v5, 0xbfc00000
	s_lshr_b64 s[8:9], s[16:17], 8
	s_ashr_i32 s19, s18, 31
	v_cmp_lt_f32_e64 vcc_lo, |v13|, |v12|
	s_mul_u64 s[8:9], s[8:9], s[20:21]
	v_fma_f32 v20, |v4|, v5, -4.0
	s_mul_u64 s[8:9], s[8:9], s[18:19]
	v_lshrrev_b32_e32 v17, 1, v0
	s_wait_alu 0xfffd
	v_cndmask_b32_e32 v12, v12, v13, vcc_lo
	v_cndmask_b32_e64 v15, 0, 1, vcc_lo
	v_lshrrev_b32_e32 v13, 8, v1
	s_mul_u64 s[8:9], s[8:9], 0x90
	v_and_b32_e32 v22, 0x1fe, v17
	v_cmp_lt_f32_e64 vcc_lo, |v14|, |v12|
	s_wait_kmcnt 0x0
	s_add_nc_u64 s[0:1], s[0:1], s[8:9]
	s_wait_alu 0xfffd
	v_dual_cndmask_b32 v14, v12, v14 :: v_dual_and_b32 v23, 3, v0
	v_cndmask_b32_e64 v15, v15, 2, vcc_lo
	v_mad_co_i64_i32 v[12:13], null, v13, s18, 0
	s_delay_alu instid0(VALU_DEP_3) | instskip(SKIP_3) | instid1(VALU_DEP_3)
	v_cmp_lt_f32_e64 vcc_lo, |v16|, |v14|
	s_wait_alu 0xfffd
	v_cndmask_b32_e32 v14, v14, v16, vcc_lo
	v_fma_f32 v16, |v4|, v5, -2.0
	v_cndmask_b32_e64 v15, v15, 3, vcc_lo
	v_mad_co_u64_u32 v[18:19], null, 0x90, v12, s[0:1]
	v_cmp_eq_u32_e64 s0, 0, v23
	s_delay_alu instid0(VALU_DEP_4) | instskip(SKIP_3) | instid1(VALU_DEP_3)
	v_cmp_lt_f32_e64 vcc_lo, |v16|, |v14|
	s_wait_alu 0xfffd
	v_cndmask_b32_e32 v14, v14, v16, vcc_lo
	v_fma_f32 v16, |v4|, v5, 0xc0400000
	v_cndmask_b32_e64 v15, v15, 4, vcc_lo
	v_mov_b32_e32 v12, v19
	v_fma_f32 v5, |v4|, v5, 0xc0c00000
	s_delay_alu instid0(VALU_DEP_4) | instskip(SKIP_2) | instid1(VALU_DEP_2)
	v_cmp_lt_f32_e64 vcc_lo, |v16|, |v14|
	s_wait_alu 0xfffd
	v_cndmask_b32_e32 v16, v14, v16, vcc_lo
	v_cndmask_b32_e64 v15, v15, 5, vcc_lo
	v_mad_co_u64_u32 v[13:14], null, 0x90, v13, v[12:13]
	v_lshlrev_b32_e32 v12, 1, v0
	s_delay_alu instid0(VALU_DEP_4) | instskip(SKIP_1) | instid1(VALU_DEP_3)
	v_cmp_lt_f32_e64 vcc_lo, |v20|, |v16|
	s_wait_alu 0xfffd
	v_dual_mov_b32 v19, v13 :: v_dual_cndmask_b32 v14, v16, v20
	s_delay_alu instid0(VALU_DEP_2)
	v_cndmask_b32_e64 v15, v15, 6, vcc_lo
	v_cmp_gt_f32_e32 vcc_lo, 0, v4
	v_add_nc_u32_e32 v16, 17, v22
	s_wait_alu 0xfffd
	v_cndmask_b32_e64 v4, 0, 8, vcc_lo
	v_cmp_nlt_f32_e64 vcc_lo, |v5|, |v14|
	s_wait_alu 0xfffd
	v_dual_cndmask_b32 v5, 7, v15 :: v_dual_and_b32 v14, 31, v16
	v_and_b32_e32 v15, 0x78, v12
	s_delay_alu instid0(VALU_DEP_2) | instskip(SKIP_1) | instid1(VALU_DEP_4)
	v_lshlrev_b32_e32 v17, 2, v14
	v_bfe_u32 v12, v1, 6, 2
	v_or_b32_e32 v13, v5, v4
	s_delay_alu instid0(VALU_DEP_4)
	v_xor_b32_e32 v16, 64, v15
	v_mad_co_u64_u32 v[4:5], null, 0x90, s2, v[18:19]
	ds_bpermute_b32 v18, v15, v13
	ds_bpermute_b32 v19, v15, v13 offset:4
	ds_bpermute_b32 v20, v16, v13
	ds_bpermute_b32 v21, v17, v13
	v_lshlrev_b32_e32 v13, 5, v12
	s_delay_alu instid0(VALU_DEP_1) | instskip(SKIP_2) | instid1(VALU_DEP_2)
	v_add_co_u32 v13, vcc_lo, v4, v13
	s_wait_alu 0xfffd
	v_add_co_ci_u32_e64 v14, null, 0, v5, vcc_lo
	v_add_co_u32 v4, vcc_lo, v13, v22
	s_wait_alu 0xfffd
	s_delay_alu instid0(VALU_DEP_2)
	v_add_co_ci_u32_e64 v5, null, 0, v14, vcc_lo
	s_and_saveexec_b32 s1, s0
	s_cbranch_execz .LBB5_11
; %bb.10:
	s_wait_dscnt 0x0
	v_lshl_or_b32 v19, v21, 4, v19
	v_lshl_or_b32 v18, v20, 4, v18
	s_delay_alu instid0(VALU_DEP_2) | instskip(NEXT) | instid1(VALU_DEP_2)
	v_lshlrev_b16 v19, 8, v19
	v_and_b32_e32 v18, 0xff, v18
	s_delay_alu instid0(VALU_DEP_1)
	v_or_b32_e32 v18, v18, v19
	global_store_b16 v[4:5], v18, off offset:16
.LBB5_11:
	s_wait_alu 0xfffe
	s_or_b32 exec_lo, exec_lo, s1
	v_or_b32_e32 v1, 32, v1
	s_wait_dscnt 0x3
	s_delay_alu instid0(VALU_DEP_1) | instskip(SKIP_4) | instid1(VALU_DEP_2)
	v_add_co_u32 v18, s1, v1, v0
	s_wait_dscnt 0x2
	s_wait_alu 0xf1ff
	v_add_co_ci_u32_e64 v19, null, 0, 0, s1
	v_mov_b32_e32 v1, 0
	v_cmp_gt_i64_e32 vcc_lo, s[4:5], v[18:19]
	v_mov_b32_e32 v18, 0
	s_and_saveexec_b32 s1, vcc_lo
	s_cbranch_execz .LBB5_13
; %bb.12:
	v_add_co_u32 v2, vcc_lo, s6, v2
	s_wait_alu 0xfffd
	v_add_co_ci_u32_e64 v3, null, s7, v3, vcc_lo
	global_load_b32 v18, v[2:3], off offset:128
.LBB5_13:
	s_wait_alu 0xfffe
	s_or_b32 exec_lo, exec_lo, s1
	s_wait_loadcnt 0x0
	v_and_b32_e32 v2, 0x7fffffff, v18
	v_max_num_f32_e64 v3, |v18|, |v18|
	s_mov_b32 s1, exec_lo
	ds_bpermute_b32 v2, v7, v2
	s_wait_dscnt 0x0
	v_max_num_f32_e32 v2, v2, v2
	s_delay_alu instid0(VALU_DEP_1) | instskip(SKIP_3) | instid1(VALU_DEP_1)
	v_max_num_f32_e32 v2, v3, v2
	ds_bpermute_b32 v3, v8, v2
	s_wait_dscnt 0x0
	v_max_num_f32_e32 v3, v3, v3
	v_max_num_f32_e32 v2, v2, v3
	ds_bpermute_b32 v3, v9, v2
	s_wait_dscnt 0x0
	v_max_num_f32_e32 v3, v3, v3
	s_delay_alu instid0(VALU_DEP_1) | instskip(SKIP_3) | instid1(VALU_DEP_1)
	v_max_num_f32_e32 v2, v2, v3
	ds_bpermute_b32 v3, v10, v2
	s_wait_dscnt 0x0
	v_max_num_f32_e32 v3, v3, v3
	v_max_num_f32_e32 v2, v2, v3
	ds_bpermute_b32 v3, v11, v2
	s_wait_dscnt 0x0
	v_max_num_f32_e32 v3, v3, v3
	s_delay_alu instid0(VALU_DEP_1) | instskip(NEXT) | instid1(VALU_DEP_1)
	v_max_num_f32_e32 v7, v2, v3
	v_cmpx_lt_f32_e32 0, v7
	s_cbranch_execz .LBB5_15
; %bb.14:
	v_cmp_gt_f32_e32 vcc_lo, 0x800000, v7
	s_wait_alu 0xfffd
	v_cndmask_b32_e64 v2, 0, 32, vcc_lo
	v_cndmask_b32_e64 v1, 0, 0x42000000, vcc_lo
	s_delay_alu instid0(VALU_DEP_2) | instskip(NEXT) | instid1(VALU_DEP_1)
	v_ldexp_f32 v2, v7, v2
	v_log_f32_e32 v2, v2
	s_delay_alu instid0(TRANS32_DEP_1) | instskip(NEXT) | instid1(VALU_DEP_1)
	v_sub_f32_e32 v1, v2, v1
	v_rndne_f32_e32 v1, v1
	s_delay_alu instid0(VALU_DEP_1) | instskip(NEXT) | instid1(VALU_DEP_1)
	v_cvt_i32_f32_e32 v1, v1
	v_max_i32_e32 v1, 0xffffff83, v1
	s_delay_alu instid0(VALU_DEP_1) | instskip(NEXT) | instid1(VALU_DEP_1)
	v_add_nc_u32_e32 v1, 0x7d, v1
	v_min_u32_e32 v1, 0xfe, v1
.LBB5_15:
	s_wait_alu 0xfffe
	s_or_b32 exec_lo, exec_lo, s1
	v_or_b32_e32 v2, 4, v15
	v_mov_b32_e32 v3, 0
	s_mov_b32 s1, exec_lo
	v_cmpx_neq_f32_e32 0, v7
	s_cbranch_execz .LBB5_17
; %bb.16:
	v_lshlrev_b32_e32 v3, 23, v1
	s_delay_alu instid0(VALU_DEP_1) | instskip(NEXT) | instid1(VALU_DEP_1)
	v_div_scale_f32 v7, null, v3, v3, 1.0
	v_rcp_f32_e32 v8, v7
	s_delay_alu instid0(TRANS32_DEP_1) | instskip(NEXT) | instid1(VALU_DEP_1)
	v_fma_f32 v9, -v7, v8, 1.0
	v_fmac_f32_e32 v8, v9, v8
	v_div_scale_f32 v9, vcc_lo, 1.0, v3, 1.0
	s_delay_alu instid0(VALU_DEP_1) | instskip(NEXT) | instid1(VALU_DEP_1)
	v_mul_f32_e32 v10, v9, v8
	v_fma_f32 v11, -v7, v10, v9
	s_delay_alu instid0(VALU_DEP_1) | instskip(NEXT) | instid1(VALU_DEP_1)
	v_fmac_f32_e32 v10, v11, v8
	v_fma_f32 v7, -v7, v10, v9
	s_wait_alu 0xfffd
	s_delay_alu instid0(VALU_DEP_1) | instskip(SKIP_1) | instid1(VALU_DEP_2)
	v_div_fmas_f32 v7, v7, v8, v10
	v_cmp_ne_u16_e32 vcc_lo, 0, v1
	v_div_fixup_f32 v3, v7, v3, 1.0
	s_wait_alu 0xfffd
	s_delay_alu instid0(VALU_DEP_1)
	v_cndmask_b32_e32 v3, 0x7f000000, v3, vcc_lo
.LBB5_17:
	s_wait_alu 0xfffe
	s_or_b32 exec_lo, exec_lo, s1
	s_delay_alu instid0(VALU_DEP_1) | instskip(SKIP_2) | instid1(VALU_DEP_2)
	v_mul_f32_e64 v7, |v18|, v3
	v_fma_f32 v8, |v18|, v3, -0.5
	v_fma_f32 v9, |v18|, v3, -1.0
	v_cmp_lt_f32_e64 vcc_lo, |v8|, |v7|
	s_wait_alu 0xfffd
	v_cndmask_b32_e32 v7, v7, v8, vcc_lo
	s_delay_alu instid0(VALU_DEP_2) | instskip(SKIP_1) | instid1(VALU_DEP_3)
	v_cndmask_b32_e64 v10, 0, 1, vcc_lo
	v_fma_f32 v8, |v18|, v3, 0xbfc00000
	v_cmp_lt_f32_e64 vcc_lo, |v9|, |v7|
	s_wait_alu 0xfffd
	v_cndmask_b32_e32 v7, v7, v9, vcc_lo
	s_delay_alu instid0(VALU_DEP_2) | instskip(SKIP_1) | instid1(VALU_DEP_3)
	v_cndmask_b32_e64 v10, v10, 2, vcc_lo
	v_fma_f32 v9, |v18|, v3, -2.0
	v_cmp_lt_f32_e64 vcc_lo, |v8|, |v7|
	s_wait_alu 0xfffd
	v_cndmask_b32_e32 v7, v7, v8, vcc_lo
	s_delay_alu instid0(VALU_DEP_2) | instskip(SKIP_1) | instid1(VALU_DEP_3)
	v_cndmask_b32_e64 v10, v10, 3, vcc_lo
	v_fma_f32 v8, |v18|, v3, 0xc0400000
	v_cmp_lt_f32_e64 vcc_lo, |v9|, |v7|
	s_wait_alu 0xfffd
	v_cndmask_b32_e32 v7, v7, v9, vcc_lo
	s_delay_alu instid0(VALU_DEP_2) | instskip(SKIP_2) | instid1(VALU_DEP_4)
	v_cndmask_b32_e64 v10, v10, 4, vcc_lo
	v_fma_f32 v9, |v18|, v3, -4.0
	v_fma_f32 v3, |v18|, v3, 0xc0c00000
	v_cmp_lt_f32_e64 vcc_lo, |v8|, |v7|
	s_wait_alu 0xfffd
	v_cndmask_b32_e32 v7, v7, v8, vcc_lo
	s_delay_alu instid0(VALU_DEP_2) | instskip(NEXT) | instid1(VALU_DEP_2)
	v_cndmask_b32_e64 v8, v10, 5, vcc_lo
	v_cmp_lt_f32_e64 vcc_lo, |v9|, |v7|
	s_wait_alu 0xfffd
	v_cndmask_b32_e32 v7, v7, v9, vcc_lo
	s_delay_alu instid0(VALU_DEP_2)
	v_cndmask_b32_e64 v8, v8, 6, vcc_lo
	v_cmp_gt_f32_e32 vcc_lo, 0, v18
	s_wait_alu 0xfffd
	v_cndmask_b32_e64 v9, 0, 8, vcc_lo
	v_cmp_nlt_f32_e64 vcc_lo, |v3|, |v7|
	s_wait_alu 0xfffd
	v_cndmask_b32_e32 v3, 7, v8, vcc_lo
	s_delay_alu instid0(VALU_DEP_1)
	v_or_b32_e32 v8, v3, v9
	ds_bpermute_b32 v3, v15, v8
	ds_bpermute_b32 v2, v2, v8
	;; [unrolled: 1-line block ×4, first 2 shown]
	s_and_saveexec_b32 s1, s0
	s_cbranch_execz .LBB5_19
; %bb.18:
	s_wait_dscnt 0x0
	v_lshl_or_b32 v2, v8, 4, v2
	v_lshl_or_b32 v3, v7, 4, v3
	s_delay_alu instid0(VALU_DEP_2) | instskip(NEXT) | instid1(VALU_DEP_2)
	v_lshlrev_b16 v2, 8, v2
	v_and_b32_e32 v3, 0xff, v3
	s_delay_alu instid0(VALU_DEP_1)
	v_or_b32_e32 v2, v3, v2
	global_store_b16 v[4:5], v2, off offset:32
.LBB5_19:
	s_wait_alu 0xfffe
	s_or_b32 exec_lo, exec_lo, s1
	v_cmp_eq_u32_e32 vcc_lo, 0, v0
	s_and_b32 exec_lo, exec_lo, vcc_lo
	s_cbranch_execz .LBB5_21
; %bb.20:
	v_lshlrev_b16 v0, 8, v1
	v_mul_i32_i24_e32 v1, 0xffffffe4, v12
	s_wait_dscnt 0x2
	v_mul_hi_i32_i24_e32 v2, 0xffffffe4, v12
	s_delay_alu instid0(VALU_DEP_3) | instskip(NEXT) | instid1(VALU_DEP_3)
	v_or_b32_e32 v3, v6, v0
	v_add_co_u32 v0, vcc_lo, v13, v1
	s_wait_alu 0xfffd
	s_delay_alu instid0(VALU_DEP_3) | instskip(NEXT) | instid1(VALU_DEP_3)
	v_add_co_ci_u32_e64 v1, null, v14, v2, vcc_lo
	v_and_b32_e32 v2, 0xffff, v3
	global_store_b32 v[0:1], v2, off
.LBB5_21:
	s_endpgm
	.section	.rodata,"a",@progbits
	.p2align	6, 0x0
	.amdhsa_kernel _ZL18quantize_mmq_mxfp4PKfPKiPvlllllii
		.amdhsa_group_segment_fixed_size 0
		.amdhsa_private_segment_fixed_size 0
		.amdhsa_kernarg_size 328
		.amdhsa_user_sgpr_count 2
		.amdhsa_user_sgpr_dispatch_ptr 0
		.amdhsa_user_sgpr_queue_ptr 0
		.amdhsa_user_sgpr_kernarg_segment_ptr 1
		.amdhsa_user_sgpr_dispatch_id 0
		.amdhsa_user_sgpr_private_segment_size 0
		.amdhsa_wavefront_size32 1
		.amdhsa_uses_dynamic_stack 0
		.amdhsa_enable_private_segment 0
		.amdhsa_system_sgpr_workgroup_id_x 1
		.amdhsa_system_sgpr_workgroup_id_y 1
		.amdhsa_system_sgpr_workgroup_id_z 1
		.amdhsa_system_sgpr_workgroup_info 0
		.amdhsa_system_vgpr_workitem_id 1
		.amdhsa_next_free_vgpr 24
		.amdhsa_next_free_sgpr 28
		.amdhsa_reserve_vcc 1
		.amdhsa_float_round_mode_32 0
		.amdhsa_float_round_mode_16_64 0
		.amdhsa_float_denorm_mode_32 3
		.amdhsa_float_denorm_mode_16_64 3
		.amdhsa_fp16_overflow 0
		.amdhsa_workgroup_processor_mode 1
		.amdhsa_memory_ordered 1
		.amdhsa_forward_progress 1
		.amdhsa_inst_pref_size 20
		.amdhsa_round_robin_scheduling 0
		.amdhsa_exception_fp_ieee_invalid_op 0
		.amdhsa_exception_fp_denorm_src 0
		.amdhsa_exception_fp_ieee_div_zero 0
		.amdhsa_exception_fp_ieee_overflow 0
		.amdhsa_exception_fp_ieee_underflow 0
		.amdhsa_exception_fp_ieee_inexact 0
		.amdhsa_exception_int_div_zero 0
	.end_amdhsa_kernel
	.section	.text._ZL18quantize_mmq_mxfp4PKfPKiPvlllllii,"axG",@progbits,_ZL18quantize_mmq_mxfp4PKfPKiPvlllllii,comdat
.Lfunc_end5:
	.size	_ZL18quantize_mmq_mxfp4PKfPKiPvlllllii, .Lfunc_end5-_ZL18quantize_mmq_mxfp4PKfPKiPvlllllii
                                        ; -- End function
	.set _ZL18quantize_mmq_mxfp4PKfPKiPvlllllii.num_vgpr, 24
	.set _ZL18quantize_mmq_mxfp4PKfPKiPvlllllii.num_agpr, 0
	.set _ZL18quantize_mmq_mxfp4PKfPKiPvlllllii.numbered_sgpr, 28
	.set _ZL18quantize_mmq_mxfp4PKfPKiPvlllllii.num_named_barrier, 0
	.set _ZL18quantize_mmq_mxfp4PKfPKiPvlllllii.private_seg_size, 0
	.set _ZL18quantize_mmq_mxfp4PKfPKiPvlllllii.uses_vcc, 1
	.set _ZL18quantize_mmq_mxfp4PKfPKiPvlllllii.uses_flat_scratch, 0
	.set _ZL18quantize_mmq_mxfp4PKfPKiPvlllllii.has_dyn_sized_stack, 0
	.set _ZL18quantize_mmq_mxfp4PKfPKiPvlllllii.has_recursion, 0
	.set _ZL18quantize_mmq_mxfp4PKfPKiPvlllllii.has_indirect_call, 0
	.section	.AMDGPU.csdata,"",@progbits
; Kernel info:
; codeLenInByte = 2536
; TotalNumSgprs: 30
; NumVgprs: 24
; ScratchSize: 0
; MemoryBound: 0
; FloatMode: 240
; IeeeMode: 1
; LDSByteSize: 0 bytes/workgroup (compile time only)
; SGPRBlocks: 0
; VGPRBlocks: 2
; NumSGPRsForWavesPerEU: 30
; NumVGPRsForWavesPerEU: 24
; Occupancy: 16
; WaveLimiterHint : 0
; COMPUTE_PGM_RSRC2:SCRATCH_EN: 0
; COMPUTE_PGM_RSRC2:USER_SGPR: 2
; COMPUTE_PGM_RSRC2:TRAP_HANDLER: 0
; COMPUTE_PGM_RSRC2:TGID_X_EN: 1
; COMPUTE_PGM_RSRC2:TGID_Y_EN: 1
; COMPUTE_PGM_RSRC2:TGID_Z_EN: 1
; COMPUTE_PGM_RSRC2:TIDIG_COMP_CNT: 1
	.section	.text._ZL17quantize_mmq_q8_1IL18mmq_q8_1_ds_layout0EEvPKfPKiPvlllllii,"axG",@progbits,_ZL17quantize_mmq_q8_1IL18mmq_q8_1_ds_layout0EEvPKfPKiPvlllllii,comdat
	.globl	_ZL17quantize_mmq_q8_1IL18mmq_q8_1_ds_layout0EEvPKfPKiPvlllllii ; -- Begin function _ZL17quantize_mmq_q8_1IL18mmq_q8_1_ds_layout0EEvPKfPKiPvlllllii
	.p2align	8
	.type	_ZL17quantize_mmq_q8_1IL18mmq_q8_1_ds_layout0EEvPKfPKiPvlllllii,@function
_ZL17quantize_mmq_q8_1IL18mmq_q8_1_ds_layout0EEvPKfPKiPvlllllii: ; @_ZL17quantize_mmq_q8_1IL18mmq_q8_1_ds_layout0EEvPKfPKiPvlllllii
; %bb.0:
	s_clause 0x1
	s_load_b32 s4, s[0:1], 0x54
	s_load_b64 s[2:3], s[0:1], 0x38
	v_mov_b32_e32 v1, 0
	s_wait_kmcnt 0x0
	s_and_b32 s12, s4, 0xffff
	s_and_b32 s4, ttmp7, 0xffff
	s_delay_alu instid0(VALU_DEP_1) | instid1(SALU_CYCLE_1)
	v_mad_co_u64_u32 v[4:5], null, s12, s4, v[0:1]
	s_delay_alu instid0(VALU_DEP_1) | instskip(NEXT) | instid1(VALU_DEP_1)
	v_lshlrev_b64_e32 v[6:7], 2, v[4:5]
	v_cmp_gt_i64_e32 vcc_lo, s[2:3], v[6:7]
	s_and_saveexec_b32 s2, vcc_lo
	s_cbranch_execz .LBB6_7
; %bb.1:
	s_clause 0x2
	s_load_b64 s[16:17], s[0:1], 0x40
	s_load_b64 s[14:15], s[0:1], 0x8
	s_load_b256 s[4:11], s[0:1], 0x18
	s_mov_b32 s19, 0
	s_mov_b32 s2, ttmp9
	s_lshr_b32 s18, ttmp7, 16
	s_add_nc_u64 s[20:21], s[0:1], 0x48
	s_wait_kmcnt 0x0
	s_cvt_f32_u32 s3, s17
	s_cmp_eq_u64 s[14:15], 0
	s_wait_alu 0xfffe
	s_delay_alu instid0(SALU_CYCLE_1) | instskip(SKIP_3) | instid1(TRANS32_DEP_1)
	v_rcp_iflag_f32_e32 v0, s3
	s_mov_b32 s3, s19
	s_wait_alu 0xfffe
	s_mov_b64 s[22:23], s[2:3]
	v_readfirstlane_b32 s24, v0
	s_cbranch_scc1 .LBB6_3
; %bb.2:
	s_lshl_b64 s[22:23], s[2:3], 2
	s_delay_alu instid0(SALU_CYCLE_1)
	s_add_nc_u64 s[14:15], s[14:15], s[22:23]
	s_load_b32 s22, s[14:15], 0x0
	s_wait_kmcnt 0x0
	s_ashr_i32 s23, s22, 31
.LBB6_3:
	s_load_b64 s[14:15], s[0:1], 0x10
	s_load_b64 s[20:21], s[20:21], 0x0
	v_dual_mov_b32 v8, 0 :: v_dual_mov_b32 v1, 0
	v_dual_mov_b32 v0, 0 :: v_dual_mov_b32 v3, 0
	v_mov_b32_e32 v2, 0
	s_mov_b32 s13, s19
	s_mov_b32 s3, exec_lo
	v_cmpx_gt_i64_e64 s[4:5], v[6:7]
	s_cbranch_execz .LBB6_5
; %bb.4:
	s_mul_f32 s4, s24, 0x4f7ffffe
	s_sub_co_i32 s5, 0, s17
	s_load_b64 s[0:1], s[0:1], 0x0
	s_delay_alu instid0(SALU_CYCLE_1) | instskip(SKIP_1) | instid1(SALU_CYCLE_2)
	s_cvt_u32_f32 s4, s4
	s_wait_alu 0xfffe
	s_mul_i32 s5, s5, s4
	s_wait_alu 0xfffe
	s_mul_hi_u32 s24, s4, s5
	s_mov_b32 s5, s19
	s_add_co_i32 s4, s4, s24
	s_wait_alu 0xfffe
	s_mul_u64 s[4:5], s[18:19], s[4:5]
	s_wait_alu 0xfffe
	s_mul_i32 s4, s5, s17
	s_add_co_i32 s24, s5, 1
	s_wait_alu 0xfffe
	s_sub_co_i32 s4, s18, s4
	s_wait_alu 0xfffe
	s_sub_co_i32 s25, s4, s17
	s_cmp_ge_u32 s4, s17
	s_cselect_b32 s5, s24, s5
	s_cselect_b32 s4, s25, s4
	s_wait_alu 0xfffe
	s_add_co_i32 s24, s5, 1
	s_cmp_ge_u32 s4, s17
	s_cselect_b32 s4, s24, s5
	s_wait_alu 0xfffe
	s_mul_i32 s5, s4, s17
	s_wait_alu 0xfffe
	s_sub_co_i32 s5, s18, s5
	s_wait_alu 0xfffe
	v_mad_co_u64_u32 v[0:1], null, s8, s5, v[6:7]
	s_delay_alu instid0(VALU_DEP_1) | instskip(SKIP_2) | instid1(VALU_DEP_1)
	v_mad_co_u64_u32 v[1:2], null, s9, s5, v[1:2]
	s_mul_i32 s5, s22, s7
	v_mad_co_u64_u32 v[0:1], null, s10, s4, v[0:1]
	v_mad_co_u64_u32 v[1:2], null, s11, s4, v[1:2]
	s_mul_i32 s4, s23, s6
	v_mad_co_u64_u32 v[0:1], null, s22, s6, v[0:1]
	s_wait_alu 0xfffe
	s_delay_alu instid0(VALU_DEP_1) | instskip(NEXT) | instid1(VALU_DEP_1)
	v_add3_u32 v1, s5, s4, v1
	v_ashrrev_i32_e32 v2, 31, v1
	s_delay_alu instid0(VALU_DEP_1) | instskip(NEXT) | instid1(VALU_DEP_1)
	v_lshrrev_b32_e32 v2, 30, v2
	v_add_co_u32 v0, vcc_lo, v0, v2
	s_delay_alu instid0(VALU_DEP_1) | instskip(NEXT) | instid1(VALU_DEP_1)
	v_add_co_ci_u32_e64 v1, null, 0, v1, vcc_lo
	v_lshlrev_b64_e32 v[0:1], 2, v[0:1]
	s_delay_alu instid0(VALU_DEP_1) | instskip(SKIP_1) | instid1(VALU_DEP_1)
	v_and_b32_e32 v0, -16, v0
	s_wait_kmcnt 0x0
	v_add_co_u32 v0, vcc_lo, s0, v0
	s_wait_alu 0xfffd
	s_delay_alu instid0(VALU_DEP_3)
	v_add_co_ci_u32_e64 v1, null, s1, v1, vcc_lo
	global_load_b128 v[0:3], v[0:1], off
.LBB6_5:
	s_wait_alu 0xfffe
	s_or_b32 exec_lo, exec_lo, s3
	v_mbcnt_lo_u32_b32 v7, -1, 0
	s_wait_loadcnt 0x0
	v_max_num_f32_e64 v9, |v1|, |v1|
	v_max_num_f32_e64 v10, |v0|, |v0|
	v_alignbit_b32 v14, v5, v4, 5
	v_lshrrev_b32_e32 v5, 5, v5
	v_xor_b32_e32 v11, 4, v7
	s_ashr_i32 s3, s16, 31
	s_mov_b32 s1, 0
	s_wait_alu 0xfffe
	v_mul_lo_u32 v15, v14, s3
	s_wait_kmcnt 0x0
	s_mov_b32 s0, s20
	v_cmp_gt_i32_e32 vcc_lo, 32, v11
	v_max_num_f32_e32 v9, v10, v9
	s_mov_b32 s4, s21
	s_wait_alu 0xfffe
	s_mul_u64 s[6:7], s[12:13], s[0:1]
	s_mov_b32 s5, s1
	s_wait_alu 0xfffd
	v_cndmask_b32_e32 v10, v7, v11, vcc_lo
	v_xor_b32_e32 v11, 2, v7
	v_max3_num_f32 v9, v9, |v2|, |v3|
	s_wait_alu 0xfffe
	s_mul_u64 s[0:1], s[6:7], s[4:5]
	s_wait_alu 0xfffe
	s_lshr_b64 s[0:1], s[0:1], 5
	v_cmp_gt_i32_e32 vcc_lo, 32, v11
	v_lshlrev_b32_e32 v10, 2, v10
	s_wait_alu 0xfffe
	s_mul_u64 s[0:1], s[0:1], s[18:19]
	s_wait_alu 0xfffe
	s_mul_u64 s[0:1], s[0:1], 0x90
	s_wait_alu 0xfffd
	v_cndmask_b32_e32 v11, v7, v11, vcc_lo
	ds_bpermute_b32 v10, v10, v9
	s_wait_alu 0xfffe
	s_add_nc_u64 s[0:1], s[14:15], s[0:1]
	s_wait_dscnt 0x0
	v_dual_max_num_f32 v10, v10, v10 :: v_dual_lshlrev_b32 v11, 2, v11
	s_delay_alu instid0(VALU_DEP_1) | instskip(SKIP_2) | instid1(VALU_DEP_1)
	v_max_num_f32_e32 v9, v9, v10
	ds_bpermute_b32 v10, v11, v9
	v_xor_b32_e32 v11, 1, v7
	v_cmp_gt_i32_e32 vcc_lo, 32, v11
	s_wait_dscnt 0x0
	s_wait_alu 0xfffd
	v_dual_cndmask_b32 v7, v7, v11 :: v_dual_max_num_f32 v10, v10, v10
	s_delay_alu instid0(VALU_DEP_1) | instskip(NEXT) | instid1(VALU_DEP_2)
	v_lshlrev_b32_e32 v7, 2, v7
	v_max_num_f32_e32 v9, v9, v10
	ds_bpermute_b32 v7, v7, v9
	s_wait_dscnt 0x0
	v_max_num_f32_e32 v7, v7, v7
	s_delay_alu instid0(VALU_DEP_1) | instskip(NEXT) | instid1(VALU_DEP_1)
	v_max_num_f32_e32 v7, v9, v7
	v_div_scale_f32 v9, null, v7, v7, 0x42fe0000
	v_div_scale_f32 v12, vcc_lo, 0x42fe0000, v7, 0x42fe0000
	s_delay_alu instid0(VALU_DEP_2) | instskip(NEXT) | instid1(TRANS32_DEP_1)
	v_rcp_f32_e32 v11, v9
	v_fma_f32 v10, -v9, v11, 1.0
	s_delay_alu instid0(VALU_DEP_1) | instskip(NEXT) | instid1(VALU_DEP_1)
	v_fmac_f32_e32 v11, v10, v11
	v_mul_f32_e32 v13, v12, v11
	s_delay_alu instid0(VALU_DEP_1) | instskip(NEXT) | instid1(VALU_DEP_1)
	v_fma_f32 v10, -v9, v13, v12
	v_fmac_f32_e32 v13, v10, v11
	s_delay_alu instid0(VALU_DEP_1) | instskip(SKIP_2) | instid1(VALU_DEP_2)
	v_fma_f32 v12, -v9, v13, v12
	v_mad_co_u64_u32 v[9:10], null, v14, s16, 0
	s_wait_alu 0xfffd
	v_div_fmas_f32 v11, v12, v11, v13
	v_mul_lo_u32 v12, v5, s16
	s_delay_alu instid0(VALU_DEP_2) | instskip(NEXT) | instid1(VALU_DEP_2)
	v_div_fixup_f32 v5, v11, v7, 0x42fe0000
	v_add3_u32 v7, v10, v15, v12
	s_delay_alu instid0(VALU_DEP_2) | instskip(SKIP_2) | instid1(VALU_DEP_3)
	v_mul_f32_e32 v10, v0, v5
	v_mul_f32_e32 v3, v3, v5
	;; [unrolled: 1-line block ×3, first 2 shown]
	v_trunc_f32_e32 v12, v10
	s_delay_alu instid0(VALU_DEP_3) | instskip(SKIP_1) | instid1(VALU_DEP_4)
	v_trunc_f32_e32 v15, v3
	v_mul_f32_e32 v11, v1, v5
	v_trunc_f32_e32 v14, v2
	s_wait_alu 0xfffe
	v_mad_co_u64_u32 v[0:1], null, 0x90, v9, s[0:1]
	v_sub_f32_e32 v16, v10, v12
	v_sub_f32_e32 v18, v3, v15
	v_trunc_f32_e32 v13, v11
	v_sub_f32_e32 v17, v2, v14
	s_delay_alu instid0(VALU_DEP_4) | instskip(NEXT) | instid1(VALU_DEP_3)
	v_cmp_ge_f32_e64 s0, |v16|, 0.5
	v_sub_f32_e32 v9, v11, v13
	s_wait_alu 0xf1ff
	s_delay_alu instid0(VALU_DEP_2) | instskip(NEXT) | instid1(VALU_DEP_2)
	v_cndmask_b32_e64 v16, 0, 1.0, s0
	v_cmp_ge_f32_e64 s0, |v9|, 0.5
	s_delay_alu instid0(VALU_DEP_2) | instskip(SKIP_1) | instid1(VALU_DEP_2)
	v_bfi_b32 v10, 0x7fffffff, v16, v10
	s_wait_alu 0xf1ff
	v_cndmask_b32_e64 v9, 0, 1.0, s0
	v_cmp_ge_f32_e64 s0, |v17|, 0.5
	s_delay_alu instid0(VALU_DEP_2) | instskip(SKIP_1) | instid1(VALU_DEP_2)
	v_bfi_b32 v9, 0x7fffffff, v9, v11
	s_wait_alu 0xf1ff
	;; [unrolled: 5-line block ×3, first 2 shown]
	v_cndmask_b32_e64 v18, 0, 1.0, s0
	v_mad_co_u64_u32 v[1:2], null, 0x90, v7, v[1:2]
	v_dual_add_f32 v2, v13, v9 :: v_dual_add_f32 v7, v12, v10
	s_delay_alu instid0(VALU_DEP_3) | instskip(SKIP_1) | instid1(VALU_DEP_3)
	v_bfi_b32 v3, 0x7fffffff, v18, v3
	v_add_f32_e32 v9, v14, v11
	v_cvt_i32_f32_e32 v2, v2
	s_delay_alu instid0(VALU_DEP_4) | instskip(NEXT) | instid1(VALU_DEP_4)
	v_cvt_i32_f32_e32 v7, v7
	v_add_f32_e32 v3, v15, v3
	s_delay_alu instid0(VALU_DEP_4) | instskip(SKIP_2) | instid1(VALU_DEP_4)
	v_cvt_i32_f32_e32 v9, v9
	v_mad_co_u64_u32 v[0:1], null, 0x90, s2, v[0:1]
	v_lshlrev_b16 v2, 8, v2
	v_cvt_i32_f32_e32 v3, v3
	v_and_b32_e32 v7, 0xff, v7
	v_and_b32_e32 v9, 0xff, v9
	s_delay_alu instid0(VALU_DEP_3) | instskip(NEXT) | instid1(VALU_DEP_3)
	v_lshlrev_b16 v3, 8, v3
	v_or_b32_e32 v10, v7, v2
	v_and_b32_e32 v2, 0x7c, v6
	v_and_b32_e32 v7, 7, v4
	s_delay_alu instid0(VALU_DEP_4) | instskip(NEXT) | instid1(VALU_DEP_4)
	v_or_b32_e32 v3, v9, v3
	v_and_b32_e32 v6, 0xffff, v10
	s_delay_alu instid0(VALU_DEP_2)
	v_lshlrev_b32_e32 v9, 16, v3
	v_add_co_u32 v3, vcc_lo, v0, v2
	s_wait_alu 0xfffd
	v_add_co_ci_u32_e64 v4, null, 0, v1, vcc_lo
	v_cmp_eq_u64_e32 vcc_lo, 0, v[7:8]
	v_or_b32_e32 v6, v6, v9
	global_store_b32 v[3:4], v6, off offset:16
	s_and_b32 exec_lo, exec_lo, vcc_lo
	s_cbranch_execz .LBB6_7
; %bb.6:
	v_div_scale_f32 v3, null, v5, v5, 1.0
	v_div_scale_f32 v7, vcc_lo, 1.0, v5, 1.0
	v_lshrrev_b32_e32 v2, 3, v2
	s_delay_alu instid0(VALU_DEP_3) | instskip(NEXT) | instid1(TRANS32_DEP_1)
	v_rcp_f32_e32 v4, v3
	v_fma_f32 v6, -v3, v4, 1.0
	s_delay_alu instid0(VALU_DEP_1) | instskip(NEXT) | instid1(VALU_DEP_1)
	v_fmac_f32_e32 v4, v6, v4
	v_mul_f32_e32 v6, v7, v4
	s_delay_alu instid0(VALU_DEP_1) | instskip(NEXT) | instid1(VALU_DEP_1)
	v_fma_f32 v8, -v3, v6, v7
	v_fmac_f32_e32 v6, v8, v4
	s_delay_alu instid0(VALU_DEP_1) | instskip(SKIP_1) | instid1(VALU_DEP_1)
	v_fma_f32 v3, -v3, v6, v7
	s_wait_alu 0xfffd
	v_div_fmas_f32 v3, v3, v4, v6
	v_add_co_u32 v0, vcc_lo, v0, v2
	s_wait_alu 0xfffd
	v_add_co_ci_u32_e64 v1, null, 0, v1, vcc_lo
	s_delay_alu instid0(VALU_DEP_3)
	v_div_fixup_f32 v3, v3, v5, 1.0
	global_store_b32 v[0:1], v3, off
.LBB6_7:
	s_endpgm
	.section	.rodata,"a",@progbits
	.p2align	6, 0x0
	.amdhsa_kernel _ZL17quantize_mmq_q8_1IL18mmq_q8_1_ds_layout0EEvPKfPKiPvlllllii
		.amdhsa_group_segment_fixed_size 0
		.amdhsa_private_segment_fixed_size 0
		.amdhsa_kernarg_size 328
		.amdhsa_user_sgpr_count 2
		.amdhsa_user_sgpr_dispatch_ptr 0
		.amdhsa_user_sgpr_queue_ptr 0
		.amdhsa_user_sgpr_kernarg_segment_ptr 1
		.amdhsa_user_sgpr_dispatch_id 0
		.amdhsa_user_sgpr_private_segment_size 0
		.amdhsa_wavefront_size32 1
		.amdhsa_uses_dynamic_stack 0
		.amdhsa_enable_private_segment 0
		.amdhsa_system_sgpr_workgroup_id_x 1
		.amdhsa_system_sgpr_workgroup_id_y 1
		.amdhsa_system_sgpr_workgroup_id_z 1
		.amdhsa_system_sgpr_workgroup_info 0
		.amdhsa_system_vgpr_workitem_id 0
		.amdhsa_next_free_vgpr 19
		.amdhsa_next_free_sgpr 26
		.amdhsa_reserve_vcc 1
		.amdhsa_float_round_mode_32 0
		.amdhsa_float_round_mode_16_64 0
		.amdhsa_float_denorm_mode_32 3
		.amdhsa_float_denorm_mode_16_64 3
		.amdhsa_fp16_overflow 0
		.amdhsa_workgroup_processor_mode 1
		.amdhsa_memory_ordered 1
		.amdhsa_forward_progress 1
		.amdhsa_inst_pref_size 12
		.amdhsa_round_robin_scheduling 0
		.amdhsa_exception_fp_ieee_invalid_op 0
		.amdhsa_exception_fp_denorm_src 0
		.amdhsa_exception_fp_ieee_div_zero 0
		.amdhsa_exception_fp_ieee_overflow 0
		.amdhsa_exception_fp_ieee_underflow 0
		.amdhsa_exception_fp_ieee_inexact 0
		.amdhsa_exception_int_div_zero 0
	.end_amdhsa_kernel
	.section	.text._ZL17quantize_mmq_q8_1IL18mmq_q8_1_ds_layout0EEvPKfPKiPvlllllii,"axG",@progbits,_ZL17quantize_mmq_q8_1IL18mmq_q8_1_ds_layout0EEvPKfPKiPvlllllii,comdat
.Lfunc_end6:
	.size	_ZL17quantize_mmq_q8_1IL18mmq_q8_1_ds_layout0EEvPKfPKiPvlllllii, .Lfunc_end6-_ZL17quantize_mmq_q8_1IL18mmq_q8_1_ds_layout0EEvPKfPKiPvlllllii
                                        ; -- End function
	.set _ZL17quantize_mmq_q8_1IL18mmq_q8_1_ds_layout0EEvPKfPKiPvlllllii.num_vgpr, 19
	.set _ZL17quantize_mmq_q8_1IL18mmq_q8_1_ds_layout0EEvPKfPKiPvlllllii.num_agpr, 0
	.set _ZL17quantize_mmq_q8_1IL18mmq_q8_1_ds_layout0EEvPKfPKiPvlllllii.numbered_sgpr, 26
	.set _ZL17quantize_mmq_q8_1IL18mmq_q8_1_ds_layout0EEvPKfPKiPvlllllii.num_named_barrier, 0
	.set _ZL17quantize_mmq_q8_1IL18mmq_q8_1_ds_layout0EEvPKfPKiPvlllllii.private_seg_size, 0
	.set _ZL17quantize_mmq_q8_1IL18mmq_q8_1_ds_layout0EEvPKfPKiPvlllllii.uses_vcc, 1
	.set _ZL17quantize_mmq_q8_1IL18mmq_q8_1_ds_layout0EEvPKfPKiPvlllllii.uses_flat_scratch, 0
	.set _ZL17quantize_mmq_q8_1IL18mmq_q8_1_ds_layout0EEvPKfPKiPvlllllii.has_dyn_sized_stack, 0
	.set _ZL17quantize_mmq_q8_1IL18mmq_q8_1_ds_layout0EEvPKfPKiPvlllllii.has_recursion, 0
	.set _ZL17quantize_mmq_q8_1IL18mmq_q8_1_ds_layout0EEvPKfPKiPvlllllii.has_indirect_call, 0
	.section	.AMDGPU.csdata,"",@progbits
; Kernel info:
; codeLenInByte = 1500
; TotalNumSgprs: 28
; NumVgprs: 19
; ScratchSize: 0
; MemoryBound: 0
; FloatMode: 240
; IeeeMode: 1
; LDSByteSize: 0 bytes/workgroup (compile time only)
; SGPRBlocks: 0
; VGPRBlocks: 2
; NumSGPRsForWavesPerEU: 28
; NumVGPRsForWavesPerEU: 19
; Occupancy: 16
; WaveLimiterHint : 0
; COMPUTE_PGM_RSRC2:SCRATCH_EN: 0
; COMPUTE_PGM_RSRC2:USER_SGPR: 2
; COMPUTE_PGM_RSRC2:TRAP_HANDLER: 0
; COMPUTE_PGM_RSRC2:TGID_X_EN: 1
; COMPUTE_PGM_RSRC2:TGID_Y_EN: 1
; COMPUTE_PGM_RSRC2:TGID_Z_EN: 1
; COMPUTE_PGM_RSRC2:TIDIG_COMP_CNT: 0
	.section	.text._ZL17quantize_mmq_q8_1IL18mmq_q8_1_ds_layout1EEvPKfPKiPvlllllii,"axG",@progbits,_ZL17quantize_mmq_q8_1IL18mmq_q8_1_ds_layout1EEvPKfPKiPvlllllii,comdat
	.globl	_ZL17quantize_mmq_q8_1IL18mmq_q8_1_ds_layout1EEvPKfPKiPvlllllii ; -- Begin function _ZL17quantize_mmq_q8_1IL18mmq_q8_1_ds_layout1EEvPKfPKiPvlllllii
	.p2align	8
	.type	_ZL17quantize_mmq_q8_1IL18mmq_q8_1_ds_layout1EEvPKfPKiPvlllllii,@function
_ZL17quantize_mmq_q8_1IL18mmq_q8_1_ds_layout1EEvPKfPKiPvlllllii: ; @_ZL17quantize_mmq_q8_1IL18mmq_q8_1_ds_layout1EEvPKfPKiPvlllllii
; %bb.0:
	s_clause 0x1
	s_load_b32 s4, s[0:1], 0x54
	s_load_b64 s[2:3], s[0:1], 0x38
	v_mov_b32_e32 v1, 0
	s_wait_kmcnt 0x0
	s_and_b32 s14, s4, 0xffff
	s_and_b32 s4, ttmp7, 0xffff
	s_delay_alu instid0(VALU_DEP_1) | instid1(SALU_CYCLE_1)
	v_mad_co_u64_u32 v[4:5], null, s14, s4, v[0:1]
	s_delay_alu instid0(VALU_DEP_1) | instskip(NEXT) | instid1(VALU_DEP_1)
	v_lshlrev_b64_e32 v[6:7], 2, v[4:5]
	v_cmp_gt_i64_e32 vcc_lo, s[2:3], v[6:7]
	s_and_saveexec_b32 s2, vcc_lo
	s_cbranch_execz .LBB7_7
; %bb.1:
	s_clause 0x2
	s_load_b64 s[16:17], s[0:1], 0x40
	s_load_b64 s[12:13], s[0:1], 0x8
	s_load_b256 s[4:11], s[0:1], 0x18
	s_mov_b32 s19, 0
	s_mov_b32 s2, ttmp9
	s_lshr_b32 s18, ttmp7, 16
	s_add_nc_u64 s[20:21], s[0:1], 0x48
	s_wait_kmcnt 0x0
	s_cvt_f32_u32 s3, s17
	s_cmp_eq_u64 s[12:13], 0
	s_wait_alu 0xfffe
	s_delay_alu instid0(SALU_CYCLE_1) | instskip(SKIP_3) | instid1(TRANS32_DEP_1)
	v_rcp_iflag_f32_e32 v0, s3
	s_mov_b32 s3, s19
	s_wait_alu 0xfffe
	s_mov_b64 s[22:23], s[2:3]
	v_readfirstlane_b32 s24, v0
	s_cbranch_scc1 .LBB7_3
; %bb.2:
	s_lshl_b64 s[22:23], s[2:3], 2
	s_delay_alu instid0(SALU_CYCLE_1)
	s_add_nc_u64 s[12:13], s[12:13], s[22:23]
	s_load_b32 s22, s[12:13], 0x0
	s_wait_kmcnt 0x0
	s_ashr_i32 s23, s22, 31
.LBB7_3:
	s_load_b64 s[12:13], s[0:1], 0x10
	s_load_b64 s[20:21], s[20:21], 0x0
	v_dual_mov_b32 v8, 0 :: v_dual_mov_b32 v1, 0
	v_dual_mov_b32 v0, 0 :: v_dual_mov_b32 v3, 0
	v_mov_b32_e32 v2, 0
	s_mov_b32 s15, s19
	s_mov_b32 s3, exec_lo
	v_cmpx_gt_i64_e64 s[4:5], v[6:7]
	s_cbranch_execz .LBB7_5
; %bb.4:
	s_mul_f32 s4, s24, 0x4f7ffffe
	s_sub_co_i32 s5, 0, s17
	s_load_b64 s[0:1], s[0:1], 0x0
	s_delay_alu instid0(SALU_CYCLE_1) | instskip(SKIP_1) | instid1(SALU_CYCLE_2)
	s_cvt_u32_f32 s4, s4
	s_wait_alu 0xfffe
	s_mul_i32 s5, s5, s4
	s_wait_alu 0xfffe
	s_mul_hi_u32 s24, s4, s5
	s_mov_b32 s5, s19
	s_add_co_i32 s4, s4, s24
	s_wait_alu 0xfffe
	s_mul_u64 s[4:5], s[18:19], s[4:5]
	s_wait_alu 0xfffe
	s_mul_i32 s4, s5, s17
	s_add_co_i32 s24, s5, 1
	s_wait_alu 0xfffe
	s_sub_co_i32 s4, s18, s4
	s_wait_alu 0xfffe
	s_sub_co_i32 s25, s4, s17
	s_cmp_ge_u32 s4, s17
	s_cselect_b32 s5, s24, s5
	s_cselect_b32 s4, s25, s4
	s_wait_alu 0xfffe
	s_add_co_i32 s24, s5, 1
	s_cmp_ge_u32 s4, s17
	s_cselect_b32 s4, s24, s5
	s_wait_alu 0xfffe
	s_mul_i32 s5, s4, s17
	s_wait_alu 0xfffe
	s_sub_co_i32 s5, s18, s5
	s_wait_alu 0xfffe
	v_mad_co_u64_u32 v[0:1], null, s8, s5, v[6:7]
	s_delay_alu instid0(VALU_DEP_1) | instskip(SKIP_2) | instid1(VALU_DEP_1)
	v_mad_co_u64_u32 v[1:2], null, s9, s5, v[1:2]
	s_mul_i32 s5, s22, s7
	v_mad_co_u64_u32 v[0:1], null, s10, s4, v[0:1]
	v_mad_co_u64_u32 v[1:2], null, s11, s4, v[1:2]
	s_mul_i32 s4, s23, s6
	v_mad_co_u64_u32 v[0:1], null, s22, s6, v[0:1]
	s_wait_alu 0xfffe
	s_delay_alu instid0(VALU_DEP_1) | instskip(NEXT) | instid1(VALU_DEP_1)
	v_add3_u32 v1, s5, s4, v1
	v_ashrrev_i32_e32 v2, 31, v1
	s_delay_alu instid0(VALU_DEP_1) | instskip(NEXT) | instid1(VALU_DEP_1)
	v_lshrrev_b32_e32 v2, 30, v2
	v_add_co_u32 v0, vcc_lo, v0, v2
	s_delay_alu instid0(VALU_DEP_1) | instskip(NEXT) | instid1(VALU_DEP_1)
	v_add_co_ci_u32_e64 v1, null, 0, v1, vcc_lo
	v_lshlrev_b64_e32 v[0:1], 2, v[0:1]
	s_delay_alu instid0(VALU_DEP_1) | instskip(SKIP_1) | instid1(VALU_DEP_1)
	v_and_b32_e32 v0, -16, v0
	s_wait_kmcnt 0x0
	v_add_co_u32 v0, vcc_lo, s0, v0
	s_wait_alu 0xfffd
	s_delay_alu instid0(VALU_DEP_3)
	v_add_co_ci_u32_e64 v1, null, s1, v1, vcc_lo
	global_load_b128 v[0:3], v[0:1], off
.LBB7_5:
	s_wait_alu 0xfffe
	s_or_b32 exec_lo, exec_lo, s3
	v_mbcnt_lo_u32_b32 v7, -1, 0
	s_wait_loadcnt 0x0
	v_max_num_f32_e64 v9, |v1|, |v1|
	v_max_num_f32_e64 v10, |v0|, |v0|
	s_mov_b32 s1, 0
	s_wait_kmcnt 0x0
	s_mov_b32 s0, s20
	v_xor_b32_e32 v11, 4, v7
	v_xor_b32_e32 v12, 2, v7
	s_mov_b32 s4, s21
	s_wait_alu 0xfffe
	s_mov_b32 s5, s1
	s_mul_u64 s[0:1], s[14:15], s[0:1]
	v_cmp_gt_i32_e32 vcc_lo, 32, v11
	v_max_num_f32_e32 v9, v10, v9
	s_ashr_i32 s3, s16, 31
	s_wait_alu 0xfffe
	s_mul_u64 s[0:1], s[0:1], s[4:5]
	s_wait_alu 0xfffe
	s_lshr_b64 s[0:1], s[0:1], 5
	s_wait_alu 0xfffd
	v_cndmask_b32_e32 v10, v7, v11, vcc_lo
	v_max3_num_f32 v9, v9, |v2|, |v3|
	v_cmp_gt_i32_e32 vcc_lo, 32, v12
	s_wait_alu 0xfffe
	s_mul_u64 s[0:1], s[0:1], s[18:19]
	v_lshlrev_b32_e32 v11, 2, v10
	s_wait_alu 0xfffe
	s_mul_u64 s[0:1], s[0:1], 0x90
	s_wait_alu 0xfffd
	v_cndmask_b32_e32 v12, v7, v12, vcc_lo
	s_wait_alu 0xfffe
	s_add_nc_u64 s[0:1], s[12:13], s[0:1]
	ds_bpermute_b32 v10, v11, v9
	v_lshlrev_b32_e32 v13, 2, v12
	v_xor_b32_e32 v12, 1, v7
	s_delay_alu instid0(VALU_DEP_1) | instskip(SKIP_2) | instid1(VALU_DEP_1)
	v_cmp_gt_i32_e32 vcc_lo, 32, v12
	s_wait_dscnt 0x0
	v_max_num_f32_e32 v10, v10, v10
	v_max_num_f32_e32 v9, v9, v10
	ds_bpermute_b32 v10, v13, v9
	s_wait_dscnt 0x0
	s_wait_alu 0xfffd
	v_dual_cndmask_b32 v7, v7, v12 :: v_dual_max_num_f32 v10, v10, v10
	s_delay_alu instid0(VALU_DEP_1) | instskip(NEXT) | instid1(VALU_DEP_2)
	v_lshlrev_b32_e32 v7, 2, v7
	v_max_num_f32_e32 v9, v9, v10
	ds_bpermute_b32 v10, v7, v9
	s_wait_dscnt 0x0
	v_max_num_f32_e32 v10, v10, v10
	s_delay_alu instid0(VALU_DEP_1) | instskip(SKIP_1) | instid1(VALU_DEP_2)
	v_max_num_f32_e32 v14, v9, v10
	v_add_f32_e32 v10, v0, v1
	v_div_scale_f32 v12, null, v14, v14, 0x42fe0000
	v_div_scale_f32 v16, vcc_lo, 0x42fe0000, v14, 0x42fe0000
	s_delay_alu instid0(VALU_DEP_3) | instskip(NEXT) | instid1(VALU_DEP_3)
	v_add_f32_e32 v20, v10, v2
	v_rcp_f32_e32 v15, v12
	s_delay_alu instid0(TRANS32_DEP_1) | instskip(NEXT) | instid1(VALU_DEP_1)
	v_fma_f32 v9, -v12, v15, 1.0
	v_fmac_f32_e32 v15, v9, v15
	v_alignbit_b32 v9, v5, v4, 5
	v_lshrrev_b32_e32 v5, 5, v5
	s_delay_alu instid0(VALU_DEP_3) | instskip(NEXT) | instid1(VALU_DEP_3)
	v_mul_f32_e32 v17, v16, v15
	v_mul_lo_u32 v18, v9, s3
	v_mad_co_u64_u32 v[9:10], null, v9, s16, 0
	s_delay_alu instid0(VALU_DEP_3) | instskip(NEXT) | instid1(VALU_DEP_1)
	v_fma_f32 v19, -v12, v17, v16
	v_fmac_f32_e32 v17, v19, v15
	v_add_f32_e32 v19, v20, v3
	v_mul_lo_u32 v20, v5, s16
	s_delay_alu instid0(VALU_DEP_3)
	v_fma_f32 v5, -v12, v17, v16
	ds_bpermute_b32 v16, v11, v19
	s_wait_alu 0xfffe
	v_mad_co_u64_u32 v[11:12], null, 0x90, v9, s[0:1]
	s_wait_alu 0xfffd
	v_div_fmas_f32 v5, v5, v15, v17
	v_add3_u32 v9, v10, v18, v20
	s_delay_alu instid0(VALU_DEP_2) | instskip(NEXT) | instid1(VALU_DEP_1)
	v_div_fixup_f32 v5, v5, v14, 0x42fe0000
	v_mul_f32_e32 v10, v0, v5
	v_mov_b32_e32 v0, v12
	v_mul_f32_e32 v12, v1, v5
	v_mul_f32_e32 v2, v2, v5
	s_delay_alu instid0(VALU_DEP_4)
	v_trunc_f32_e32 v14, v10
	s_wait_dscnt 0x0
	v_add_f32_e32 v15, v19, v16
	v_trunc_f32_e32 v16, v12
	v_trunc_f32_e32 v17, v2
	v_sub_f32_e32 v1, v10, v14
	ds_bpermute_b32 v13, v13, v15
	v_dual_sub_f32 v19, v12, v16 :: v_dual_sub_f32 v20, v2, v17
	v_cmp_ge_f32_e64 s0, |v1|, 0.5
	v_mad_co_u64_u32 v[0:1], null, 0x90, v9, v[0:1]
	s_wait_alu 0xf1ff
	s_delay_alu instid0(VALU_DEP_2) | instskip(SKIP_1) | instid1(VALU_DEP_2)
	v_cndmask_b32_e64 v22, 0, 1.0, s0
	v_cmp_ge_f32_e64 s0, |v19|, 0.5
	v_bfi_b32 v9, 0x7fffffff, v22, v10
	s_wait_alu 0xf1ff
	s_delay_alu instid0(VALU_DEP_2) | instskip(SKIP_1) | instid1(VALU_DEP_3)
	v_cndmask_b32_e64 v19, 0, 1.0, s0
	v_cmp_ge_f32_e64 s0, |v20|, 0.5
	v_add_f32_e32 v9, v14, v9
	s_delay_alu instid0(VALU_DEP_3) | instskip(SKIP_1) | instid1(VALU_DEP_3)
	v_bfi_b32 v1, 0x7fffffff, v19, v12
	s_wait_alu 0xf1ff
	v_cndmask_b32_e64 v20, 0, 1.0, s0
	v_mov_b32_e32 v12, v0
	s_delay_alu instid0(VALU_DEP_3) | instskip(NEXT) | instid1(VALU_DEP_3)
	v_add_f32_e32 v1, v16, v1
	v_bfi_b32 v2, 0x7fffffff, v20, v2
	v_mul_f32_e32 v3, v3, v5
	s_delay_alu instid0(VALU_DEP_3) | instskip(NEXT) | instid1(VALU_DEP_3)
	v_cvt_i32_f32_e32 v0, v1
	v_add_f32_e32 v2, v17, v2
	s_delay_alu instid0(VALU_DEP_3) | instskip(SKIP_1) | instid1(VALU_DEP_4)
	v_trunc_f32_e32 v18, v3
	v_cvt_i32_f32_e32 v1, v9
	v_lshlrev_b16 v10, 8, v0
	s_delay_alu instid0(VALU_DEP_4) | instskip(NEXT) | instid1(VALU_DEP_4)
	v_cvt_i32_f32_e32 v9, v2
	v_sub_f32_e32 v21, v3, v18
	s_wait_dscnt 0x0
	v_add_f32_e32 v2, v15, v13
	v_and_b32_e32 v13, 0xff, v1
	v_mad_co_u64_u32 v[0:1], null, 0x90, s2, v[11:12]
	v_and_b32_e32 v14, 0xff, v9
	v_cmp_ge_f32_e64 s0, |v21|, 0.5
	ds_bpermute_b32 v9, v7, v2
	v_or_b32_e32 v10, v13, v10
	v_and_b32_e32 v7, 7, v4
	s_wait_alu 0xf1ff
	v_cndmask_b32_e64 v21, 0, 1.0, s0
	s_delay_alu instid0(VALU_DEP_3) | instskip(NEXT) | instid1(VALU_DEP_2)
	v_and_b32_e32 v4, 0xffff, v10
	v_bfi_b32 v3, 0x7fffffff, v21, v3
	s_delay_alu instid0(VALU_DEP_1) | instskip(NEXT) | instid1(VALU_DEP_1)
	v_add_f32_e32 v3, v18, v3
	v_cvt_i32_f32_e32 v3, v3
	s_delay_alu instid0(VALU_DEP_1) | instskip(NEXT) | instid1(VALU_DEP_1)
	v_lshlrev_b16 v3, 8, v3
	v_or_b32_e32 v11, v14, v3
	v_and_b32_e32 v3, 0x7c, v6
	s_delay_alu instid0(VALU_DEP_2) | instskip(NEXT) | instid1(VALU_DEP_2)
	v_lshlrev_b32_e32 v6, 16, v11
	v_add_co_u32 v10, vcc_lo, v0, v3
	s_wait_alu 0xfffd
	v_add_co_ci_u32_e64 v11, null, 0, v1, vcc_lo
	v_cmp_eq_u64_e32 vcc_lo, 0, v[7:8]
	v_or_b32_e32 v4, v4, v6
	global_store_b32 v[10:11], v4, off offset:16
	s_and_b32 exec_lo, exec_lo, vcc_lo
	s_cbranch_execz .LBB7_7
; %bb.6:
	v_div_scale_f32 v4, null, v5, v5, 1.0
	v_div_scale_f32 v8, vcc_lo, 1.0, v5, 1.0
	v_lshrrev_b32_e32 v3, 3, v3
	s_delay_alu instid0(VALU_DEP_3) | instskip(SKIP_2) | instid1(VALU_DEP_1)
	v_rcp_f32_e32 v6, v4
	s_wait_dscnt 0x0
	v_add_f32_e32 v2, v2, v9
	v_cvt_f16_f32_e32 v2, v2
	s_delay_alu instid0(TRANS32_DEP_1) | instskip(NEXT) | instid1(VALU_DEP_2)
	v_fma_f32 v7, -v4, v6, 1.0
	v_lshlrev_b32_e32 v2, 16, v2
	s_delay_alu instid0(VALU_DEP_2) | instskip(NEXT) | instid1(VALU_DEP_1)
	v_fmac_f32_e32 v6, v7, v6
	v_mul_f32_e32 v7, v8, v6
	s_delay_alu instid0(VALU_DEP_1) | instskip(NEXT) | instid1(VALU_DEP_1)
	v_fma_f32 v10, -v4, v7, v8
	v_fmac_f32_e32 v7, v10, v6
	s_delay_alu instid0(VALU_DEP_1) | instskip(SKIP_1) | instid1(VALU_DEP_1)
	v_fma_f32 v4, -v4, v7, v8
	s_wait_alu 0xfffd
	v_div_fmas_f32 v4, v4, v6, v7
	v_add_co_u32 v0, vcc_lo, v0, v3
	s_wait_alu 0xfffd
	v_add_co_ci_u32_e64 v1, null, 0, v1, vcc_lo
	s_delay_alu instid0(VALU_DEP_3) | instskip(NEXT) | instid1(VALU_DEP_1)
	v_div_fixup_f32 v4, v4, v5, 1.0
	v_cvt_f16_f32_e32 v4, v4
	s_delay_alu instid0(VALU_DEP_1) | instskip(NEXT) | instid1(VALU_DEP_1)
	v_and_b32_e32 v4, 0xffff, v4
	v_or_b32_e32 v2, v2, v4
	global_store_b32 v[0:1], v2, off
.LBB7_7:
	s_endpgm
	.section	.rodata,"a",@progbits
	.p2align	6, 0x0
	.amdhsa_kernel _ZL17quantize_mmq_q8_1IL18mmq_q8_1_ds_layout1EEvPKfPKiPvlllllii
		.amdhsa_group_segment_fixed_size 0
		.amdhsa_private_segment_fixed_size 0
		.amdhsa_kernarg_size 328
		.amdhsa_user_sgpr_count 2
		.amdhsa_user_sgpr_dispatch_ptr 0
		.amdhsa_user_sgpr_queue_ptr 0
		.amdhsa_user_sgpr_kernarg_segment_ptr 1
		.amdhsa_user_sgpr_dispatch_id 0
		.amdhsa_user_sgpr_private_segment_size 0
		.amdhsa_wavefront_size32 1
		.amdhsa_uses_dynamic_stack 0
		.amdhsa_enable_private_segment 0
		.amdhsa_system_sgpr_workgroup_id_x 1
		.amdhsa_system_sgpr_workgroup_id_y 1
		.amdhsa_system_sgpr_workgroup_id_z 1
		.amdhsa_system_sgpr_workgroup_info 0
		.amdhsa_system_vgpr_workitem_id 0
		.amdhsa_next_free_vgpr 23
		.amdhsa_next_free_sgpr 26
		.amdhsa_reserve_vcc 1
		.amdhsa_float_round_mode_32 0
		.amdhsa_float_round_mode_16_64 0
		.amdhsa_float_denorm_mode_32 3
		.amdhsa_float_denorm_mode_16_64 3
		.amdhsa_fp16_overflow 0
		.amdhsa_workgroup_processor_mode 1
		.amdhsa_memory_ordered 1
		.amdhsa_forward_progress 1
		.amdhsa_inst_pref_size 13
		.amdhsa_round_robin_scheduling 0
		.amdhsa_exception_fp_ieee_invalid_op 0
		.amdhsa_exception_fp_denorm_src 0
		.amdhsa_exception_fp_ieee_div_zero 0
		.amdhsa_exception_fp_ieee_overflow 0
		.amdhsa_exception_fp_ieee_underflow 0
		.amdhsa_exception_fp_ieee_inexact 0
		.amdhsa_exception_int_div_zero 0
	.end_amdhsa_kernel
	.section	.text._ZL17quantize_mmq_q8_1IL18mmq_q8_1_ds_layout1EEvPKfPKiPvlllllii,"axG",@progbits,_ZL17quantize_mmq_q8_1IL18mmq_q8_1_ds_layout1EEvPKfPKiPvlllllii,comdat
.Lfunc_end7:
	.size	_ZL17quantize_mmq_q8_1IL18mmq_q8_1_ds_layout1EEvPKfPKiPvlllllii, .Lfunc_end7-_ZL17quantize_mmq_q8_1IL18mmq_q8_1_ds_layout1EEvPKfPKiPvlllllii
                                        ; -- End function
	.set _ZL17quantize_mmq_q8_1IL18mmq_q8_1_ds_layout1EEvPKfPKiPvlllllii.num_vgpr, 23
	.set _ZL17quantize_mmq_q8_1IL18mmq_q8_1_ds_layout1EEvPKfPKiPvlllllii.num_agpr, 0
	.set _ZL17quantize_mmq_q8_1IL18mmq_q8_1_ds_layout1EEvPKfPKiPvlllllii.numbered_sgpr, 26
	.set _ZL17quantize_mmq_q8_1IL18mmq_q8_1_ds_layout1EEvPKfPKiPvlllllii.num_named_barrier, 0
	.set _ZL17quantize_mmq_q8_1IL18mmq_q8_1_ds_layout1EEvPKfPKiPvlllllii.private_seg_size, 0
	.set _ZL17quantize_mmq_q8_1IL18mmq_q8_1_ds_layout1EEvPKfPKiPvlllllii.uses_vcc, 1
	.set _ZL17quantize_mmq_q8_1IL18mmq_q8_1_ds_layout1EEvPKfPKiPvlllllii.uses_flat_scratch, 0
	.set _ZL17quantize_mmq_q8_1IL18mmq_q8_1_ds_layout1EEvPKfPKiPvlllllii.has_dyn_sized_stack, 0
	.set _ZL17quantize_mmq_q8_1IL18mmq_q8_1_ds_layout1EEvPKfPKiPvlllllii.has_recursion, 0
	.set _ZL17quantize_mmq_q8_1IL18mmq_q8_1_ds_layout1EEvPKfPKiPvlllllii.has_indirect_call, 0
	.section	.AMDGPU.csdata,"",@progbits
; Kernel info:
; codeLenInByte = 1596
; TotalNumSgprs: 28
; NumVgprs: 23
; ScratchSize: 0
; MemoryBound: 0
; FloatMode: 240
; IeeeMode: 1
; LDSByteSize: 0 bytes/workgroup (compile time only)
; SGPRBlocks: 0
; VGPRBlocks: 2
; NumSGPRsForWavesPerEU: 28
; NumVGPRsForWavesPerEU: 23
; Occupancy: 16
; WaveLimiterHint : 0
; COMPUTE_PGM_RSRC2:SCRATCH_EN: 0
; COMPUTE_PGM_RSRC2:USER_SGPR: 2
; COMPUTE_PGM_RSRC2:TRAP_HANDLER: 0
; COMPUTE_PGM_RSRC2:TGID_X_EN: 1
; COMPUTE_PGM_RSRC2:TGID_Y_EN: 1
; COMPUTE_PGM_RSRC2:TGID_Z_EN: 1
; COMPUTE_PGM_RSRC2:TIDIG_COMP_CNT: 0
	.section	.text._ZL17quantize_mmq_q8_1IL18mmq_q8_1_ds_layout2EEvPKfPKiPvlllllii,"axG",@progbits,_ZL17quantize_mmq_q8_1IL18mmq_q8_1_ds_layout2EEvPKfPKiPvlllllii,comdat
	.globl	_ZL17quantize_mmq_q8_1IL18mmq_q8_1_ds_layout2EEvPKfPKiPvlllllii ; -- Begin function _ZL17quantize_mmq_q8_1IL18mmq_q8_1_ds_layout2EEvPKfPKiPvlllllii
	.p2align	8
	.type	_ZL17quantize_mmq_q8_1IL18mmq_q8_1_ds_layout2EEvPKfPKiPvlllllii,@function
_ZL17quantize_mmq_q8_1IL18mmq_q8_1_ds_layout2EEvPKfPKiPvlllllii: ; @_ZL17quantize_mmq_q8_1IL18mmq_q8_1_ds_layout2EEvPKfPKiPvlllllii
; %bb.0:
	s_clause 0x1
	s_load_b32 s4, s[0:1], 0x54
	s_load_b64 s[2:3], s[0:1], 0x38
	v_mov_b32_e32 v1, 0
	s_wait_kmcnt 0x0
	s_and_b32 s16, s4, 0xffff
	s_and_b32 s4, ttmp7, 0xffff
	s_delay_alu instid0(VALU_DEP_1) | instid1(SALU_CYCLE_1)
	v_mad_co_u64_u32 v[4:5], null, s16, s4, v[0:1]
	s_delay_alu instid0(VALU_DEP_1) | instskip(NEXT) | instid1(VALU_DEP_1)
	v_lshlrev_b64_e32 v[6:7], 2, v[4:5]
	v_cmp_gt_i64_e32 vcc_lo, s[2:3], v[6:7]
	s_and_saveexec_b32 s2, vcc_lo
	s_cbranch_execz .LBB8_8
; %bb.1:
	s_clause 0x2
	s_load_b64 s[18:19], s[0:1], 0x40
	s_load_b64 s[14:15], s[0:1], 0x8
	s_load_b256 s[4:11], s[0:1], 0x18
	s_mov_b32 s13, 0
	s_mov_b32 s2, ttmp9
	s_lshr_b32 s12, ttmp7, 16
	s_add_nc_u64 s[20:21], s[0:1], 0x48
	s_wait_kmcnt 0x0
	s_cvt_f32_u32 s3, s19
	s_cmp_eq_u64 s[14:15], 0
	s_wait_alu 0xfffe
	s_delay_alu instid0(SALU_CYCLE_1) | instskip(SKIP_3) | instid1(TRANS32_DEP_1)
	v_rcp_iflag_f32_e32 v0, s3
	s_mov_b32 s3, s13
	s_wait_alu 0xfffe
	s_mov_b64 s[22:23], s[2:3]
	v_readfirstlane_b32 s24, v0
	s_cbranch_scc1 .LBB8_3
; %bb.2:
	s_lshl_b64 s[22:23], s[2:3], 2
	s_delay_alu instid0(SALU_CYCLE_1)
	s_add_nc_u64 s[14:15], s[14:15], s[22:23]
	s_load_b32 s22, s[14:15], 0x0
	s_wait_kmcnt 0x0
	s_ashr_i32 s23, s22, 31
.LBB8_3:
	s_load_b64 s[14:15], s[0:1], 0x10
	s_load_b64 s[20:21], s[20:21], 0x0
	v_dual_mov_b32 v8, 0 :: v_dual_mov_b32 v1, 0
	v_dual_mov_b32 v0, 0 :: v_dual_mov_b32 v3, 0
	v_mov_b32_e32 v2, 0
	s_mov_b32 s17, s13
	s_mov_b32 s3, exec_lo
	v_cmpx_gt_i64_e64 s[4:5], v[6:7]
	s_cbranch_execz .LBB8_5
; %bb.4:
	s_mul_f32 s4, s24, 0x4f7ffffe
	s_sub_co_i32 s5, 0, s19
	s_load_b64 s[0:1], s[0:1], 0x0
	s_delay_alu instid0(SALU_CYCLE_1) | instskip(SKIP_1) | instid1(SALU_CYCLE_2)
	s_cvt_u32_f32 s4, s4
	s_wait_alu 0xfffe
	s_mul_i32 s5, s5, s4
	s_wait_alu 0xfffe
	s_mul_hi_u32 s24, s4, s5
	s_mov_b32 s5, s13
	s_add_co_i32 s4, s4, s24
	s_wait_alu 0xfffe
	s_mul_u64 s[4:5], s[12:13], s[4:5]
	s_wait_alu 0xfffe
	s_mul_i32 s4, s5, s19
	s_add_co_i32 s24, s5, 1
	s_wait_alu 0xfffe
	s_sub_co_i32 s4, s12, s4
	s_wait_alu 0xfffe
	s_sub_co_i32 s25, s4, s19
	s_cmp_ge_u32 s4, s19
	s_cselect_b32 s5, s24, s5
	s_cselect_b32 s4, s25, s4
	s_wait_alu 0xfffe
	s_add_co_i32 s24, s5, 1
	s_cmp_ge_u32 s4, s19
	s_cselect_b32 s4, s24, s5
	s_wait_alu 0xfffe
	s_mul_i32 s5, s4, s19
	s_wait_alu 0xfffe
	s_sub_co_i32 s5, s12, s5
	s_wait_alu 0xfffe
	v_mad_co_u64_u32 v[0:1], null, s8, s5, v[6:7]
	s_delay_alu instid0(VALU_DEP_1) | instskip(SKIP_2) | instid1(VALU_DEP_1)
	v_mad_co_u64_u32 v[1:2], null, s9, s5, v[1:2]
	s_mul_i32 s5, s22, s7
	v_mad_co_u64_u32 v[0:1], null, s10, s4, v[0:1]
	v_mad_co_u64_u32 v[1:2], null, s11, s4, v[1:2]
	s_mul_i32 s4, s23, s6
	v_mad_co_u64_u32 v[0:1], null, s22, s6, v[0:1]
	s_wait_alu 0xfffe
	s_delay_alu instid0(VALU_DEP_1) | instskip(NEXT) | instid1(VALU_DEP_1)
	v_add3_u32 v1, s5, s4, v1
	v_ashrrev_i32_e32 v2, 31, v1
	s_delay_alu instid0(VALU_DEP_1) | instskip(NEXT) | instid1(VALU_DEP_1)
	v_lshrrev_b32_e32 v2, 30, v2
	v_add_co_u32 v0, vcc_lo, v0, v2
	s_delay_alu instid0(VALU_DEP_1) | instskip(NEXT) | instid1(VALU_DEP_1)
	v_add_co_ci_u32_e64 v1, null, 0, v1, vcc_lo
	v_lshlrev_b64_e32 v[0:1], 2, v[0:1]
	s_delay_alu instid0(VALU_DEP_1) | instskip(SKIP_1) | instid1(VALU_DEP_1)
	v_and_b32_e32 v0, -16, v0
	s_wait_kmcnt 0x0
	v_add_co_u32 v0, vcc_lo, s0, v0
	s_wait_alu 0xfffd
	s_delay_alu instid0(VALU_DEP_3)
	v_add_co_ci_u32_e64 v1, null, s1, v1, vcc_lo
	global_load_b128 v[0:3], v[0:1], off
.LBB8_5:
	s_wait_alu 0xfffe
	s_or_b32 exec_lo, exec_lo, s3
	v_mbcnt_lo_u32_b32 v7, -1, 0
	s_wait_loadcnt 0x0
	v_max_num_f32_e64 v9, |v1|, |v1|
	v_max_num_f32_e64 v10, |v0|, |v0|
	s_ashr_i32 s3, s18, 31
	s_mov_b32 s1, 0
	v_xor_b32_e32 v11, 8, v7
	s_wait_kmcnt 0x0
	s_mov_b32 s0, s20
	s_mov_b32 s4, s21
	s_wait_alu 0xfffe
	s_mov_b32 s5, s1
	s_mul_u64 s[0:1], s[16:17], s[0:1]
	v_cmp_gt_i32_e32 vcc_lo, 32, v11
	v_max_num_f32_e32 v9, v10, v9
	s_wait_alu 0xfffe
	s_mul_u64 s[0:1], s[0:1], s[4:5]
	v_add_f32_e32 v17, v0, v1
	s_wait_alu 0xfffe
	s_lshr_b64 s[0:1], s[0:1], 5
	s_wait_alu 0xfffd
	v_cndmask_b32_e32 v10, v7, v11, vcc_lo
	v_xor_b32_e32 v11, 4, v7
	v_max3_num_f32 v9, v9, |v2|, |v3|
	s_wait_alu 0xfffe
	s_mul_u64 s[0:1], s[0:1], s[12:13]
	s_wait_alu 0xfffe
	s_mul_u64 s[0:1], s[0:1], 0x90
	v_cmp_gt_i32_e32 vcc_lo, 32, v11
	v_lshlrev_b32_e32 v10, 2, v10
	s_wait_alu 0xfffe
	s_add_nc_u64 s[0:1], s[14:15], s[0:1]
	s_wait_alu 0xfffd
	v_cndmask_b32_e32 v11, v7, v11, vcc_lo
	ds_bpermute_b32 v10, v10, v9
	s_wait_dscnt 0x0
	v_dual_max_num_f32 v10, v10, v10 :: v_dual_lshlrev_b32 v11, 2, v11
	s_delay_alu instid0(VALU_DEP_1) | instskip(SKIP_2) | instid1(VALU_DEP_1)
	v_max_num_f32_e32 v9, v9, v10
	ds_bpermute_b32 v10, v11, v9
	v_xor_b32_e32 v11, 2, v7
	v_cmp_gt_i32_e32 vcc_lo, 32, v11
	s_wait_dscnt 0x0
	s_wait_alu 0xfffd
	v_dual_cndmask_b32 v11, v7, v11 :: v_dual_max_num_f32 v10, v10, v10
	s_delay_alu instid0(VALU_DEP_1) | instskip(SKIP_1) | instid1(VALU_DEP_3)
	v_lshlrev_b32_e32 v12, 2, v11
	v_xor_b32_e32 v11, 1, v7
	v_max_num_f32_e32 v9, v9, v10
	s_delay_alu instid0(VALU_DEP_2) | instskip(SKIP_4) | instid1(VALU_DEP_1)
	v_cmp_gt_i32_e32 vcc_lo, 32, v11
	ds_bpermute_b32 v10, v12, v9
	s_wait_dscnt 0x0
	s_wait_alu 0xfffd
	v_dual_cndmask_b32 v7, v7, v11 :: v_dual_max_num_f32 v10, v10, v10
	v_lshlrev_b32_e32 v7, 2, v7
	s_delay_alu instid0(VALU_DEP_2) | instskip(SKIP_3) | instid1(VALU_DEP_1)
	v_max_num_f32_e32 v9, v9, v10
	ds_bpermute_b32 v10, v7, v9
	s_wait_dscnt 0x0
	v_max_num_f32_e32 v10, v10, v10
	v_max_num_f32_e32 v13, v9, v10
	v_alignbit_b32 v10, v5, v4, 5
	v_lshrrev_b32_e32 v5, 5, v5
	s_delay_alu instid0(VALU_DEP_3) | instskip(SKIP_1) | instid1(VALU_DEP_4)
	v_div_scale_f32 v11, null, v13, v13, 0x42fe0000
	v_div_scale_f32 v15, vcc_lo, 0x42fe0000, v13, 0x42fe0000
	v_mul_lo_u32 v18, v10, s3
	s_delay_alu instid0(VALU_DEP_3) | instskip(NEXT) | instid1(TRANS32_DEP_1)
	v_rcp_f32_e32 v14, v11
	v_fma_f32 v9, -v11, v14, 1.0
	s_delay_alu instid0(VALU_DEP_1) | instskip(NEXT) | instid1(VALU_DEP_1)
	v_fmac_f32_e32 v14, v9, v14
	v_mul_f32_e32 v16, v15, v14
	s_delay_alu instid0(VALU_DEP_1) | instskip(NEXT) | instid1(VALU_DEP_1)
	v_fma_f32 v9, -v11, v16, v15
	v_fmac_f32_e32 v16, v9, v14
	v_mad_co_u64_u32 v[9:10], null, v10, s18, 0
	s_delay_alu instid0(VALU_DEP_2) | instskip(SKIP_2) | instid1(VALU_DEP_2)
	v_fma_f32 v11, -v11, v16, v15
	v_mul_lo_u32 v15, v5, s18
	s_wait_alu 0xfffd
	v_div_fmas_f32 v5, v11, v14, v16
	v_and_b32_e32 v11, 3, v4
	s_delay_alu instid0(VALU_DEP_2) | instskip(SKIP_1) | instid1(VALU_DEP_1)
	v_div_fixup_f32 v5, v5, v13, 0x42fe0000
	v_add_f32_e32 v14, v17, v2
	v_dual_mul_f32 v16, v1, v5 :: v_dual_add_f32 v13, v14, v3
	v_add3_u32 v14, v10, v18, v15
	v_mul_f32_e32 v15, v0, v5
	s_wait_alu 0xfffe
	v_mad_co_u64_u32 v[9:10], null, 0x90, v9, s[0:1]
	v_mul_f32_e32 v2, v2, v5
	v_trunc_f32_e32 v19, v16
	v_trunc_f32_e32 v17, v15
	ds_bpermute_b32 v18, v12, v13
	v_trunc_f32_e32 v20, v2
	v_dual_mov_b32 v0, v10 :: v_dual_sub_f32 v1, v15, v17
	v_dual_sub_f32 v10, v16, v19 :: v_dual_mul_f32 v3, v3, v5
	s_delay_alu instid0(VALU_DEP_3) | instskip(NEXT) | instid1(VALU_DEP_3)
	v_sub_f32_e32 v12, v2, v20
	v_cmp_ge_f32_e64 s0, |v1|, 0.5
	s_delay_alu instid0(VALU_DEP_3) | instskip(SKIP_1) | instid1(VALU_DEP_2)
	v_trunc_f32_e32 v21, v3
	s_wait_alu 0xf1ff
	v_cndmask_b32_e64 v23, 0, 1.0, s0
	v_cmp_ge_f32_e64 s0, |v10|, 0.5
	s_delay_alu instid0(VALU_DEP_3) | instskip(SKIP_1) | instid1(VALU_DEP_2)
	v_sub_f32_e32 v22, v3, v21
	s_wait_alu 0xf1ff
	v_cndmask_b32_e64 v10, 0, 1.0, s0
	v_cmp_ge_f32_e64 s0, |v12|, 0.5
	s_wait_alu 0xf1ff
	s_delay_alu instid0(VALU_DEP_1) | instskip(SKIP_1) | instid1(VALU_DEP_2)
	v_cndmask_b32_e64 v12, 0, 1.0, s0
	v_cmp_ge_f32_e64 s0, |v22|, 0.5
	v_bfi_b32 v2, 0x7fffffff, v12, v2
	v_mov_b32_e32 v12, v8
	v_mad_co_u64_u32 v[0:1], null, 0x90, v14, v[0:1]
	s_wait_alu 0xf1ff
	v_cndmask_b32_e64 v22, 0, 1.0, s0
	v_bfi_b32 v1, 0x7fffffff, v10, v16
	v_bfi_b32 v10, 0x7fffffff, v23, v15
	v_cmp_eq_u64_e32 vcc_lo, 0, v[11:12]
	s_delay_alu instid0(VALU_DEP_4) | instskip(NEXT) | instid1(VALU_DEP_3)
	v_bfi_b32 v3, 0x7fffffff, v22, v3
	v_dual_add_f32 v1, v19, v1 :: v_dual_add_f32 v14, v17, v10
	s_delay_alu instid0(VALU_DEP_2) | instskip(NEXT) | instid1(VALU_DEP_2)
	v_dual_mov_b32 v10, v0 :: v_dual_add_f32 v3, v21, v3
	v_cvt_i32_f32_e32 v0, v1
	s_delay_alu instid0(VALU_DEP_3) | instskip(SKIP_1) | instid1(VALU_DEP_4)
	v_cvt_i32_f32_e32 v1, v14
	v_add_f32_e32 v2, v20, v2
	v_cvt_i32_f32_e32 v3, v3
	s_delay_alu instid0(VALU_DEP_3) | instskip(NEXT) | instid1(VALU_DEP_3)
	v_and_b32_e32 v15, 0xff, v1
	v_cvt_i32_f32_e32 v14, v2
	s_wait_dscnt 0x0
	v_add_f32_e32 v2, v13, v18
	v_lshlrev_b16 v13, 8, v0
	v_lshlrev_b16 v16, 8, v3
	v_mad_co_u64_u32 v[0:1], null, 0x90, s2, v[9:10]
	v_and_b32_e32 v14, 0xff, v14
	ds_bpermute_b32 v3, v7, v2
	v_or_b32_e32 v9, v15, v13
	v_and_b32_e32 v7, 0x7c, v6
	v_or_b32_e32 v10, v14, v16
	s_delay_alu instid0(VALU_DEP_3) | instskip(NEXT) | instid1(VALU_DEP_3)
	v_and_b32_e32 v6, 0xffff, v9
	v_cmp_gt_u64_e64 s0, 0x60, v[7:8]
	v_add_co_u32 v8, s1, v0, v7
	s_delay_alu instid0(VALU_DEP_4)
	v_lshlrev_b32_e32 v10, 16, v10
	s_wait_alu 0xf1ff
	v_add_co_ci_u32_e64 v9, null, 0, v1, s1
	s_and_b32 s0, vcc_lo, s0
	v_or_b32_e32 v6, v6, v10
	global_store_b32 v[8:9], v6, off offset:16
	s_wait_alu 0xfffe
	s_and_b32 exec_lo, exec_lo, s0
	s_cbranch_execz .LBB8_8
; %bb.6:
	v_lshrrev_b32_e32 v6, 3, v7
	s_wait_dscnt 0x0
	v_dual_add_f32 v10, v2, v3 :: v_dual_mov_b32 v3, 0
	v_and_b32_e32 v2, 12, v4
	s_delay_alu instid0(VALU_DEP_3) | instskip(SKIP_2) | instid1(VALU_DEP_3)
	v_add_co_u32 v8, vcc_lo, v0, v6
	s_wait_alu 0xfffd
	v_add_co_ci_u32_e64 v9, null, 0, v1, vcc_lo
	v_cmp_eq_u64_e32 vcc_lo, 0, v[2:3]
	v_cvt_f16_f32_e32 v4, v10
	global_store_b16 v[8:9], v4, off offset:4
	s_and_b32 exec_lo, exec_lo, vcc_lo
	s_cbranch_execz .LBB8_8
; %bb.7:
	v_div_scale_f32 v2, null, v5, v5, 1.0
	s_delay_alu instid0(VALU_DEP_1) | instskip(NEXT) | instid1(TRANS32_DEP_1)
	v_rcp_f32_e32 v3, v2
	v_fma_f32 v4, -v2, v3, 1.0
	s_delay_alu instid0(VALU_DEP_1) | instskip(SKIP_1) | instid1(VALU_DEP_1)
	v_fmac_f32_e32 v3, v4, v3
	v_div_scale_f32 v4, vcc_lo, 1.0, v5, 1.0
	v_mul_f32_e32 v6, v4, v3
	s_delay_alu instid0(VALU_DEP_1) | instskip(NEXT) | instid1(VALU_DEP_1)
	v_fma_f32 v8, -v2, v6, v4
	v_fmac_f32_e32 v6, v8, v3
	s_delay_alu instid0(VALU_DEP_1) | instskip(SKIP_1) | instid1(VALU_DEP_1)
	v_fma_f32 v2, -v2, v6, v4
	s_wait_alu 0xfffd
	v_div_fmas_f32 v2, v2, v3, v6
	v_lshrrev_b32_e32 v3, 5, v7
	s_delay_alu instid0(VALU_DEP_2) | instskip(NEXT) | instid1(VALU_DEP_2)
	v_div_fixup_f32 v2, v2, v5, 1.0
	v_add_co_u32 v0, vcc_lo, v0, v3
	s_wait_alu 0xfffd
	v_add_co_ci_u32_e64 v1, null, 0, v1, vcc_lo
	s_delay_alu instid0(VALU_DEP_3)
	v_cvt_f16_f32_e32 v2, v2
	global_store_b16 v[0:1], v2, off
.LBB8_8:
	s_endpgm
	.section	.rodata,"a",@progbits
	.p2align	6, 0x0
	.amdhsa_kernel _ZL17quantize_mmq_q8_1IL18mmq_q8_1_ds_layout2EEvPKfPKiPvlllllii
		.amdhsa_group_segment_fixed_size 0
		.amdhsa_private_segment_fixed_size 0
		.amdhsa_kernarg_size 328
		.amdhsa_user_sgpr_count 2
		.amdhsa_user_sgpr_dispatch_ptr 0
		.amdhsa_user_sgpr_queue_ptr 0
		.amdhsa_user_sgpr_kernarg_segment_ptr 1
		.amdhsa_user_sgpr_dispatch_id 0
		.amdhsa_user_sgpr_private_segment_size 0
		.amdhsa_wavefront_size32 1
		.amdhsa_uses_dynamic_stack 0
		.amdhsa_enable_private_segment 0
		.amdhsa_system_sgpr_workgroup_id_x 1
		.amdhsa_system_sgpr_workgroup_id_y 1
		.amdhsa_system_sgpr_workgroup_id_z 1
		.amdhsa_system_sgpr_workgroup_info 0
		.amdhsa_system_vgpr_workitem_id 0
		.amdhsa_next_free_vgpr 24
		.amdhsa_next_free_sgpr 26
		.amdhsa_reserve_vcc 1
		.amdhsa_float_round_mode_32 0
		.amdhsa_float_round_mode_16_64 0
		.amdhsa_float_denorm_mode_32 3
		.amdhsa_float_denorm_mode_16_64 3
		.amdhsa_fp16_overflow 0
		.amdhsa_workgroup_processor_mode 1
		.amdhsa_memory_ordered 1
		.amdhsa_forward_progress 1
		.amdhsa_inst_pref_size 14
		.amdhsa_round_robin_scheduling 0
		.amdhsa_exception_fp_ieee_invalid_op 0
		.amdhsa_exception_fp_denorm_src 0
		.amdhsa_exception_fp_ieee_div_zero 0
		.amdhsa_exception_fp_ieee_overflow 0
		.amdhsa_exception_fp_ieee_underflow 0
		.amdhsa_exception_fp_ieee_inexact 0
		.amdhsa_exception_int_div_zero 0
	.end_amdhsa_kernel
	.section	.text._ZL17quantize_mmq_q8_1IL18mmq_q8_1_ds_layout2EEvPKfPKiPvlllllii,"axG",@progbits,_ZL17quantize_mmq_q8_1IL18mmq_q8_1_ds_layout2EEvPKfPKiPvlllllii,comdat
.Lfunc_end8:
	.size	_ZL17quantize_mmq_q8_1IL18mmq_q8_1_ds_layout2EEvPKfPKiPvlllllii, .Lfunc_end8-_ZL17quantize_mmq_q8_1IL18mmq_q8_1_ds_layout2EEvPKfPKiPvlllllii
                                        ; -- End function
	.set _ZL17quantize_mmq_q8_1IL18mmq_q8_1_ds_layout2EEvPKfPKiPvlllllii.num_vgpr, 24
	.set _ZL17quantize_mmq_q8_1IL18mmq_q8_1_ds_layout2EEvPKfPKiPvlllllii.num_agpr, 0
	.set _ZL17quantize_mmq_q8_1IL18mmq_q8_1_ds_layout2EEvPKfPKiPvlllllii.numbered_sgpr, 26
	.set _ZL17quantize_mmq_q8_1IL18mmq_q8_1_ds_layout2EEvPKfPKiPvlllllii.num_named_barrier, 0
	.set _ZL17quantize_mmq_q8_1IL18mmq_q8_1_ds_layout2EEvPKfPKiPvlllllii.private_seg_size, 0
	.set _ZL17quantize_mmq_q8_1IL18mmq_q8_1_ds_layout2EEvPKfPKiPvlllllii.uses_vcc, 1
	.set _ZL17quantize_mmq_q8_1IL18mmq_q8_1_ds_layout2EEvPKfPKiPvlllllii.uses_flat_scratch, 0
	.set _ZL17quantize_mmq_q8_1IL18mmq_q8_1_ds_layout2EEvPKfPKiPvlllllii.has_dyn_sized_stack, 0
	.set _ZL17quantize_mmq_q8_1IL18mmq_q8_1_ds_layout2EEvPKfPKiPvlllllii.has_recursion, 0
	.set _ZL17quantize_mmq_q8_1IL18mmq_q8_1_ds_layout2EEvPKfPKiPvlllllii.has_indirect_call, 0
	.section	.AMDGPU.csdata,"",@progbits
; Kernel info:
; codeLenInByte = 1680
; TotalNumSgprs: 28
; NumVgprs: 24
; ScratchSize: 0
; MemoryBound: 0
; FloatMode: 240
; IeeeMode: 1
; LDSByteSize: 0 bytes/workgroup (compile time only)
; SGPRBlocks: 0
; VGPRBlocks: 2
; NumSGPRsForWavesPerEU: 28
; NumVGPRsForWavesPerEU: 24
; Occupancy: 16
; WaveLimiterHint : 0
; COMPUTE_PGM_RSRC2:SCRATCH_EN: 0
; COMPUTE_PGM_RSRC2:USER_SGPR: 2
; COMPUTE_PGM_RSRC2:TRAP_HANDLER: 0
; COMPUTE_PGM_RSRC2:TGID_X_EN: 1
; COMPUTE_PGM_RSRC2:TGID_Y_EN: 1
; COMPUTE_PGM_RSRC2:TGID_Z_EN: 1
; COMPUTE_PGM_RSRC2:TIDIG_COMP_CNT: 0
	.text
	.p2alignl 7, 3214868480
	.fill 96, 4, 3214868480
	.section	.AMDGPU.gpr_maximums,"",@progbits
	.set amdgpu.max_num_vgpr, 40
	.set amdgpu.max_num_agpr, 0
	.set amdgpu.max_num_sgpr, 34
	.text
	.type	.str,@object                    ; @.str
	.section	.rodata.str1.1,"aMS",@progbits,1
.str:
	.asciz	"/root/src/amdgpu-assembly/repos/ggml-org__llama.cpp/ggml/src/ggml-cuda/quantize.cu"
	.size	.str, 83

	.type	__FUNCTION__._ZL18quantize_mmq_nvfp4PKfPKiPvlllllll,@object ; @__FUNCTION__._ZL18quantize_mmq_nvfp4PKfPKiPvlllllll
__FUNCTION__._ZL18quantize_mmq_nvfp4PKfPKiPvlllllll:
	.asciz	"quantize_mmq_nvfp4"
	.size	__FUNCTION__._ZL18quantize_mmq_nvfp4PKfPKiPvlllllll, 19

	.type	.str.2,@object                  ; @.str.2
.str.2:
	.asciz	"%s:%d: ERROR: HIP kernel %s has no device code compatible with HIP arch %d.\n"
	.size	.str.2, 77

	.type	__hip_cuid_c6a3aea10585cc92,@object ; @__hip_cuid_c6a3aea10585cc92
	.section	.bss,"aw",@nobits
	.globl	__hip_cuid_c6a3aea10585cc92
__hip_cuid_c6a3aea10585cc92:
	.byte	0                               ; 0x0
	.size	__hip_cuid_c6a3aea10585cc92, 1

	.ident	"AMD clang version 22.0.0git (https://github.com/RadeonOpenCompute/llvm-project roc-7.2.4 26084 f58b06dce1f9c15707c5f808fd002e18c2accf7e)"
	.section	".note.GNU-stack","",@progbits
	.addrsig
	.addrsig_sym __hip_cuid_c6a3aea10585cc92
	.amdgpu_metadata
---
amdhsa.kernels:
  - .args:
      - .address_space:  global
        .offset:         0
        .size:           8
        .value_kind:     global_buffer
      - .address_space:  global
        .offset:         8
        .size:           8
        .value_kind:     global_buffer
      - .offset:         16
        .size:           8
        .value_kind:     by_value
      - .offset:         24
        .size:           8
        .value_kind:     by_value
      - .offset:         32
        .size:           8
        .value_kind:     by_value
      - .offset:         40
        .size:           8
        .value_kind:     by_value
      - .offset:         48
        .size:           8
        .value_kind:     by_value
      - .offset:         56
        .size:           4
        .value_kind:     by_value
      - .offset:         60
        .size:           12
        .value_kind:     by_value
      - .offset:         72
        .size:           4
        .value_kind:     hidden_block_count_x
      - .offset:         76
        .size:           4
        .value_kind:     hidden_block_count_y
      - .offset:         80
        .size:           4
        .value_kind:     hidden_block_count_z
      - .offset:         84
        .size:           2
        .value_kind:     hidden_group_size_x
      - .offset:         86
        .size:           2
        .value_kind:     hidden_group_size_y
      - .offset:         88
        .size:           2
        .value_kind:     hidden_group_size_z
      - .offset:         90
        .size:           2
        .value_kind:     hidden_remainder_x
      - .offset:         92
        .size:           2
        .value_kind:     hidden_remainder_y
      - .offset:         94
        .size:           2
        .value_kind:     hidden_remainder_z
      - .offset:         112
        .size:           8
        .value_kind:     hidden_global_offset_x
      - .offset:         120
        .size:           8
        .value_kind:     hidden_global_offset_y
      - .offset:         128
        .size:           8
        .value_kind:     hidden_global_offset_z
      - .offset:         136
        .size:           2
        .value_kind:     hidden_grid_dims
    .group_segment_fixed_size: 0
    .kernarg_segment_align: 8
    .kernarg_segment_size: 328
    .language:       OpenCL C
    .language_version:
      - 2
      - 0
    .max_flat_workgroup_size: 256
    .name:           _ZL13quantize_q8_1PKfPvlllllj15HIP_vector_typeIjLj3EE
    .private_segment_fixed_size: 0
    .sgpr_count:     30
    .sgpr_spill_count: 0
    .symbol:         _ZL13quantize_q8_1PKfPvlllllj15HIP_vector_typeIjLj3EE.kd
    .uniform_work_group_size: 1
    .uses_dynamic_stack: false
    .vgpr_count:     12
    .vgpr_spill_count: 0
    .wavefront_size: 32
    .workgroup_processor_mode: 1
  - .args:
      - .actual_access:  read_only
        .address_space:  global
        .offset:         0
        .size:           8
        .value_kind:     global_buffer
      - .actual_access:  read_only
        .address_space:  global
        .offset:         8
        .size:           8
        .value_kind:     global_buffer
      - .actual_access:  read_only
        .address_space:  global
        .offset:         16
        .size:           8
        .value_kind:     global_buffer
      - .offset:         24
        .size:           8
        .value_kind:     by_value
      - .offset:         32
        .size:           8
        .value_kind:     by_value
      - .offset:         40
        .size:           8
        .value_kind:     by_value
      - .offset:         48
        .size:           8
        .value_kind:     by_value
      - .offset:         56
        .size:           8
        .value_kind:     by_value
      - .offset:         64
        .size:           8
        .value_kind:     by_value
      - .offset:         72
        .size:           8
        .value_kind:     by_value
      - .offset:         80
        .size:           4
        .value_kind:     hidden_block_count_x
      - .offset:         84
        .size:           4
        .value_kind:     hidden_block_count_y
      - .offset:         88
        .size:           4
        .value_kind:     hidden_block_count_z
      - .offset:         92
        .size:           2
        .value_kind:     hidden_group_size_x
      - .offset:         94
        .size:           2
        .value_kind:     hidden_group_size_y
      - .offset:         96
        .size:           2
        .value_kind:     hidden_group_size_z
      - .offset:         98
        .size:           2
        .value_kind:     hidden_remainder_x
      - .offset:         100
        .size:           2
        .value_kind:     hidden_remainder_y
      - .offset:         102
        .size:           2
        .value_kind:     hidden_remainder_z
      - .offset:         120
        .size:           8
        .value_kind:     hidden_global_offset_x
      - .offset:         128
        .size:           8
        .value_kind:     hidden_global_offset_y
      - .offset:         136
        .size:           8
        .value_kind:     hidden_global_offset_z
      - .offset:         144
        .size:           2
        .value_kind:     hidden_grid_dims
      - .offset:         160
        .size:           8
        .value_kind:     hidden_hostcall_buffer
    .group_segment_fixed_size: 0
    .kernarg_segment_align: 8
    .kernarg_segment_size: 336
    .language:       OpenCL C
    .language_version:
      - 2
      - 0
    .max_flat_workgroup_size: 1024
    .name:           _ZL18quantize_mmq_nvfp4PKfPKiPvlllllll
    .private_segment_fixed_size: 16
    .sgpr_count:     36
    .sgpr_spill_count: 0
    .symbol:         _ZL18quantize_mmq_nvfp4PKfPKiPvlllllll.kd
    .uniform_work_group_size: 1
    .uses_dynamic_stack: false
    .vgpr_count:     40
    .vgpr_spill_count: 0
    .wavefront_size: 32
    .workgroup_processor_mode: 1
  - .args:
      - .actual_access:  read_only
        .address_space:  global
        .offset:         0
        .size:           8
        .value_kind:     global_buffer
      - .actual_access:  read_only
        .address_space:  global
        .offset:         8
        .size:           8
        .value_kind:     global_buffer
      - .actual_access:  write_only
        .address_space:  global
        .offset:         16
        .size:           8
        .value_kind:     global_buffer
      - .offset:         24
        .size:           8
        .value_kind:     by_value
      - .offset:         32
        .size:           8
        .value_kind:     by_value
      - .offset:         40
        .size:           8
        .value_kind:     by_value
      - .offset:         48
        .size:           8
        .value_kind:     by_value
      - .offset:         56
        .size:           8
        .value_kind:     by_value
      - .offset:         64
        .size:           4
        .value_kind:     by_value
      - .offset:         68
        .size:           4
        .value_kind:     by_value
      - .offset:         72
        .size:           4
        .value_kind:     hidden_block_count_x
      - .offset:         76
        .size:           4
        .value_kind:     hidden_block_count_y
      - .offset:         80
        .size:           4
        .value_kind:     hidden_block_count_z
      - .offset:         84
        .size:           2
        .value_kind:     hidden_group_size_x
      - .offset:         86
        .size:           2
        .value_kind:     hidden_group_size_y
      - .offset:         88
        .size:           2
        .value_kind:     hidden_group_size_z
      - .offset:         90
        .size:           2
        .value_kind:     hidden_remainder_x
      - .offset:         92
        .size:           2
        .value_kind:     hidden_remainder_y
      - .offset:         94
        .size:           2
        .value_kind:     hidden_remainder_z
      - .offset:         112
        .size:           8
        .value_kind:     hidden_global_offset_x
      - .offset:         120
        .size:           8
        .value_kind:     hidden_global_offset_y
      - .offset:         128
        .size:           8
        .value_kind:     hidden_global_offset_z
      - .offset:         136
        .size:           2
        .value_kind:     hidden_grid_dims
    .group_segment_fixed_size: 0
    .kernarg_segment_align: 8
    .kernarg_segment_size: 328
    .language:       OpenCL C
    .language_version:
      - 2
      - 0
    .max_flat_workgroup_size: 1024
    .name:           _ZL18quantize_mmq_mxfp4PKfPKiPvlllllii
    .private_segment_fixed_size: 0
    .sgpr_count:     30
    .sgpr_spill_count: 0
    .symbol:         _ZL18quantize_mmq_mxfp4PKfPKiPvlllllii.kd
    .uniform_work_group_size: 1
    .uses_dynamic_stack: false
    .vgpr_count:     24
    .vgpr_spill_count: 0
    .wavefront_size: 32
    .workgroup_processor_mode: 1
  - .args:
      - .actual_access:  read_only
        .address_space:  global
        .offset:         0
        .size:           8
        .value_kind:     global_buffer
      - .actual_access:  read_only
        .address_space:  global
        .offset:         8
        .size:           8
        .value_kind:     global_buffer
      - .actual_access:  write_only
        .address_space:  global
        .offset:         16
        .size:           8
        .value_kind:     global_buffer
      - .offset:         24
        .size:           8
        .value_kind:     by_value
      - .offset:         32
        .size:           8
        .value_kind:     by_value
      - .offset:         40
        .size:           8
        .value_kind:     by_value
      - .offset:         48
        .size:           8
        .value_kind:     by_value
      - .offset:         56
        .size:           8
        .value_kind:     by_value
      - .offset:         64
        .size:           4
        .value_kind:     by_value
      - .offset:         68
        .size:           4
        .value_kind:     by_value
      - .offset:         72
        .size:           4
        .value_kind:     hidden_block_count_x
      - .offset:         76
        .size:           4
        .value_kind:     hidden_block_count_y
      - .offset:         80
        .size:           4
        .value_kind:     hidden_block_count_z
      - .offset:         84
        .size:           2
        .value_kind:     hidden_group_size_x
      - .offset:         86
        .size:           2
        .value_kind:     hidden_group_size_y
      - .offset:         88
        .size:           2
        .value_kind:     hidden_group_size_z
      - .offset:         90
        .size:           2
        .value_kind:     hidden_remainder_x
      - .offset:         92
        .size:           2
        .value_kind:     hidden_remainder_y
      - .offset:         94
        .size:           2
        .value_kind:     hidden_remainder_z
      - .offset:         112
        .size:           8
        .value_kind:     hidden_global_offset_x
      - .offset:         120
        .size:           8
        .value_kind:     hidden_global_offset_y
      - .offset:         128
        .size:           8
        .value_kind:     hidden_global_offset_z
      - .offset:         136
        .size:           2
        .value_kind:     hidden_grid_dims
    .group_segment_fixed_size: 0
    .kernarg_segment_align: 8
    .kernarg_segment_size: 328
    .language:       OpenCL C
    .language_version:
      - 2
      - 0
    .max_flat_workgroup_size: 1024
    .name:           _ZL17quantize_mmq_q8_1IL18mmq_q8_1_ds_layout0EEvPKfPKiPvlllllii
    .private_segment_fixed_size: 0
    .sgpr_count:     28
    .sgpr_spill_count: 0
    .symbol:         _ZL17quantize_mmq_q8_1IL18mmq_q8_1_ds_layout0EEvPKfPKiPvlllllii.kd
    .uniform_work_group_size: 1
    .uses_dynamic_stack: false
    .vgpr_count:     19
    .vgpr_spill_count: 0
    .wavefront_size: 32
    .workgroup_processor_mode: 1
  - .args:
      - .actual_access:  read_only
        .address_space:  global
        .offset:         0
        .size:           8
        .value_kind:     global_buffer
      - .actual_access:  read_only
        .address_space:  global
        .offset:         8
        .size:           8
        .value_kind:     global_buffer
      - .actual_access:  write_only
        .address_space:  global
        .offset:         16
        .size:           8
        .value_kind:     global_buffer
      - .offset:         24
        .size:           8
        .value_kind:     by_value
      - .offset:         32
        .size:           8
        .value_kind:     by_value
      - .offset:         40
        .size:           8
        .value_kind:     by_value
      - .offset:         48
        .size:           8
        .value_kind:     by_value
      - .offset:         56
        .size:           8
        .value_kind:     by_value
      - .offset:         64
        .size:           4
        .value_kind:     by_value
      - .offset:         68
        .size:           4
        .value_kind:     by_value
      - .offset:         72
        .size:           4
        .value_kind:     hidden_block_count_x
      - .offset:         76
        .size:           4
        .value_kind:     hidden_block_count_y
      - .offset:         80
        .size:           4
        .value_kind:     hidden_block_count_z
      - .offset:         84
        .size:           2
        .value_kind:     hidden_group_size_x
      - .offset:         86
        .size:           2
        .value_kind:     hidden_group_size_y
      - .offset:         88
        .size:           2
        .value_kind:     hidden_group_size_z
      - .offset:         90
        .size:           2
        .value_kind:     hidden_remainder_x
      - .offset:         92
        .size:           2
        .value_kind:     hidden_remainder_y
      - .offset:         94
        .size:           2
        .value_kind:     hidden_remainder_z
      - .offset:         112
        .size:           8
        .value_kind:     hidden_global_offset_x
      - .offset:         120
        .size:           8
        .value_kind:     hidden_global_offset_y
      - .offset:         128
        .size:           8
        .value_kind:     hidden_global_offset_z
      - .offset:         136
        .size:           2
        .value_kind:     hidden_grid_dims
    .group_segment_fixed_size: 0
    .kernarg_segment_align: 8
    .kernarg_segment_size: 328
    .language:       OpenCL C
    .language_version:
      - 2
      - 0
    .max_flat_workgroup_size: 1024
    .name:           _ZL17quantize_mmq_q8_1IL18mmq_q8_1_ds_layout1EEvPKfPKiPvlllllii
    .private_segment_fixed_size: 0
    .sgpr_count:     28
    .sgpr_spill_count: 0
    .symbol:         _ZL17quantize_mmq_q8_1IL18mmq_q8_1_ds_layout1EEvPKfPKiPvlllllii.kd
    .uniform_work_group_size: 1
    .uses_dynamic_stack: false
    .vgpr_count:     23
    .vgpr_spill_count: 0
    .wavefront_size: 32
    .workgroup_processor_mode: 1
  - .args:
      - .actual_access:  read_only
        .address_space:  global
        .offset:         0
        .size:           8
        .value_kind:     global_buffer
      - .actual_access:  read_only
        .address_space:  global
        .offset:         8
        .size:           8
        .value_kind:     global_buffer
      - .actual_access:  write_only
        .address_space:  global
        .offset:         16
        .size:           8
        .value_kind:     global_buffer
      - .offset:         24
        .size:           8
        .value_kind:     by_value
      - .offset:         32
        .size:           8
        .value_kind:     by_value
      - .offset:         40
        .size:           8
        .value_kind:     by_value
      - .offset:         48
        .size:           8
        .value_kind:     by_value
      - .offset:         56
        .size:           8
        .value_kind:     by_value
      - .offset:         64
        .size:           4
        .value_kind:     by_value
      - .offset:         68
        .size:           4
        .value_kind:     by_value
      - .offset:         72
        .size:           4
        .value_kind:     hidden_block_count_x
      - .offset:         76
        .size:           4
        .value_kind:     hidden_block_count_y
      - .offset:         80
        .size:           4
        .value_kind:     hidden_block_count_z
      - .offset:         84
        .size:           2
        .value_kind:     hidden_group_size_x
      - .offset:         86
        .size:           2
        .value_kind:     hidden_group_size_y
      - .offset:         88
        .size:           2
        .value_kind:     hidden_group_size_z
      - .offset:         90
        .size:           2
        .value_kind:     hidden_remainder_x
      - .offset:         92
        .size:           2
        .value_kind:     hidden_remainder_y
      - .offset:         94
        .size:           2
        .value_kind:     hidden_remainder_z
      - .offset:         112
        .size:           8
        .value_kind:     hidden_global_offset_x
      - .offset:         120
        .size:           8
        .value_kind:     hidden_global_offset_y
      - .offset:         128
        .size:           8
        .value_kind:     hidden_global_offset_z
      - .offset:         136
        .size:           2
        .value_kind:     hidden_grid_dims
    .group_segment_fixed_size: 0
    .kernarg_segment_align: 8
    .kernarg_segment_size: 328
    .language:       OpenCL C
    .language_version:
      - 2
      - 0
    .max_flat_workgroup_size: 1024
    .name:           _ZL17quantize_mmq_q8_1IL18mmq_q8_1_ds_layout2EEvPKfPKiPvlllllii
    .private_segment_fixed_size: 0
    .sgpr_count:     28
    .sgpr_spill_count: 0
    .symbol:         _ZL17quantize_mmq_q8_1IL18mmq_q8_1_ds_layout2EEvPKfPKiPvlllllii.kd
    .uniform_work_group_size: 1
    .uses_dynamic_stack: false
    .vgpr_count:     24
    .vgpr_spill_count: 0
    .wavefront_size: 32
    .workgroup_processor_mode: 1
amdhsa.target:   amdgcn-amd-amdhsa--gfx1201
amdhsa.version:
  - 1
  - 2
...

	.end_amdgpu_metadata
